;; amdgpu-corpus repo=ROCm/hipCUB kind=compiled arch=gfx906 opt=O3
	.amdgcn_target "amdgcn-amd-amdhsa--gfx906"
	.amdhsa_code_object_version 6
	.section	.text._Z16warp_load_kernelILj256ELj4ELj32ELN6hipcub17WarpLoadAlgorithmE0EiEvPT3_S3_,"axG",@progbits,_Z16warp_load_kernelILj256ELj4ELj32ELN6hipcub17WarpLoadAlgorithmE0EiEvPT3_S3_,comdat
	.protected	_Z16warp_load_kernelILj256ELj4ELj32ELN6hipcub17WarpLoadAlgorithmE0EiEvPT3_S3_ ; -- Begin function _Z16warp_load_kernelILj256ELj4ELj32ELN6hipcub17WarpLoadAlgorithmE0EiEvPT3_S3_
	.globl	_Z16warp_load_kernelILj256ELj4ELj32ELN6hipcub17WarpLoadAlgorithmE0EiEvPT3_S3_
	.p2align	8
	.type	_Z16warp_load_kernelILj256ELj4ELj32ELN6hipcub17WarpLoadAlgorithmE0EiEvPT3_S3_,@function
_Z16warp_load_kernelILj256ELj4ELj32ELN6hipcub17WarpLoadAlgorithmE0EiEvPT3_S3_: ; @_Z16warp_load_kernelILj256ELj4ELj32ELN6hipcub17WarpLoadAlgorithmE0EiEvPT3_S3_
; %bb.0:
	v_mbcnt_lo_u32_b32 v1, -1, 0
	s_load_dwordx4 s[0:3], s[4:5], 0x0
	v_mbcnt_hi_u32_b32 v3, -1, v1
	v_lshlrev_b32_e32 v1, 2, v0
	s_lshl_b32 s4, s6, 10
	v_and_b32_e32 v1, 0x380, v1
	v_or_b32_e32 v5, s4, v1
	v_mov_b32_e32 v6, 0
	v_lshlrev_b64 v[1:2], 2, v[5:6]
	s_waitcnt lgkmcnt(0)
	v_mov_b32_e32 v4, s1
	v_add_co_u32_e32 v1, vcc, s0, v1
	v_lshlrev_b32_e32 v3, 4, v3
	v_addc_co_u32_e32 v2, vcc, v4, v2, vcc
	v_and_b32_e32 v3, 0x1f0, v3
	v_add_co_u32_e32 v1, vcc, v1, v3
	v_addc_co_u32_e32 v2, vcc, 0, v2, vcc
	global_load_dwordx4 v[1:4], v[1:2], off
	v_or_b32_e32 v5, s4, v0
	v_lshlrev_b64 v[11:12], 2, v[5:6]
	v_mov_b32_e32 v8, v6
	v_or_b32_e32 v7, 0x100, v5
	v_mov_b32_e32 v0, s3
	v_lshlrev_b64 v[7:8], 2, v[7:8]
	v_add_co_u32_e32 v11, vcc, s2, v11
	v_mov_b32_e32 v10, v6
	v_or_b32_e32 v9, 0x200, v5
	v_addc_co_u32_e32 v12, vcc, v0, v12, vcc
	v_mov_b32_e32 v13, s3
	v_lshlrev_b64 v[9:10], 2, v[9:10]
	v_add_co_u32_e32 v7, vcc, s2, v7
	v_or_b32_e32 v5, 0x300, v5
	v_addc_co_u32_e32 v8, vcc, v13, v8, vcc
	v_mov_b32_e32 v14, s3
	v_lshlrev_b64 v[5:6], 2, v[5:6]
	v_add_co_u32_e32 v9, vcc, s2, v9
	v_addc_co_u32_e32 v10, vcc, v14, v10, vcc
	v_mov_b32_e32 v15, s3
	v_add_co_u32_e32 v5, vcc, s2, v5
	v_addc_co_u32_e32 v6, vcc, v15, v6, vcc
	s_waitcnt vmcnt(0)
	global_store_dword v[11:12], v1, off
	global_store_dword v[7:8], v2, off
	;; [unrolled: 1-line block ×4, first 2 shown]
	s_endpgm
	.section	.rodata,"a",@progbits
	.p2align	6, 0x0
	.amdhsa_kernel _Z16warp_load_kernelILj256ELj4ELj32ELN6hipcub17WarpLoadAlgorithmE0EiEvPT3_S3_
		.amdhsa_group_segment_fixed_size 0
		.amdhsa_private_segment_fixed_size 0
		.amdhsa_kernarg_size 16
		.amdhsa_user_sgpr_count 6
		.amdhsa_user_sgpr_private_segment_buffer 1
		.amdhsa_user_sgpr_dispatch_ptr 0
		.amdhsa_user_sgpr_queue_ptr 0
		.amdhsa_user_sgpr_kernarg_segment_ptr 1
		.amdhsa_user_sgpr_dispatch_id 0
		.amdhsa_user_sgpr_flat_scratch_init 0
		.amdhsa_user_sgpr_private_segment_size 0
		.amdhsa_uses_dynamic_stack 0
		.amdhsa_system_sgpr_private_segment_wavefront_offset 0
		.amdhsa_system_sgpr_workgroup_id_x 1
		.amdhsa_system_sgpr_workgroup_id_y 0
		.amdhsa_system_sgpr_workgroup_id_z 0
		.amdhsa_system_sgpr_workgroup_info 0
		.amdhsa_system_vgpr_workitem_id 0
		.amdhsa_next_free_vgpr 16
		.amdhsa_next_free_sgpr 7
		.amdhsa_reserve_vcc 1
		.amdhsa_reserve_flat_scratch 0
		.amdhsa_float_round_mode_32 0
		.amdhsa_float_round_mode_16_64 0
		.amdhsa_float_denorm_mode_32 3
		.amdhsa_float_denorm_mode_16_64 3
		.amdhsa_dx10_clamp 1
		.amdhsa_ieee_mode 1
		.amdhsa_fp16_overflow 0
		.amdhsa_exception_fp_ieee_invalid_op 0
		.amdhsa_exception_fp_denorm_src 0
		.amdhsa_exception_fp_ieee_div_zero 0
		.amdhsa_exception_fp_ieee_overflow 0
		.amdhsa_exception_fp_ieee_underflow 0
		.amdhsa_exception_fp_ieee_inexact 0
		.amdhsa_exception_int_div_zero 0
	.end_amdhsa_kernel
	.section	.text._Z16warp_load_kernelILj256ELj4ELj32ELN6hipcub17WarpLoadAlgorithmE0EiEvPT3_S3_,"axG",@progbits,_Z16warp_load_kernelILj256ELj4ELj32ELN6hipcub17WarpLoadAlgorithmE0EiEvPT3_S3_,comdat
.Lfunc_end0:
	.size	_Z16warp_load_kernelILj256ELj4ELj32ELN6hipcub17WarpLoadAlgorithmE0EiEvPT3_S3_, .Lfunc_end0-_Z16warp_load_kernelILj256ELj4ELj32ELN6hipcub17WarpLoadAlgorithmE0EiEvPT3_S3_
                                        ; -- End function
	.set _Z16warp_load_kernelILj256ELj4ELj32ELN6hipcub17WarpLoadAlgorithmE0EiEvPT3_S3_.num_vgpr, 16
	.set _Z16warp_load_kernelILj256ELj4ELj32ELN6hipcub17WarpLoadAlgorithmE0EiEvPT3_S3_.num_agpr, 0
	.set _Z16warp_load_kernelILj256ELj4ELj32ELN6hipcub17WarpLoadAlgorithmE0EiEvPT3_S3_.numbered_sgpr, 7
	.set _Z16warp_load_kernelILj256ELj4ELj32ELN6hipcub17WarpLoadAlgorithmE0EiEvPT3_S3_.num_named_barrier, 0
	.set _Z16warp_load_kernelILj256ELj4ELj32ELN6hipcub17WarpLoadAlgorithmE0EiEvPT3_S3_.private_seg_size, 0
	.set _Z16warp_load_kernelILj256ELj4ELj32ELN6hipcub17WarpLoadAlgorithmE0EiEvPT3_S3_.uses_vcc, 1
	.set _Z16warp_load_kernelILj256ELj4ELj32ELN6hipcub17WarpLoadAlgorithmE0EiEvPT3_S3_.uses_flat_scratch, 0
	.set _Z16warp_load_kernelILj256ELj4ELj32ELN6hipcub17WarpLoadAlgorithmE0EiEvPT3_S3_.has_dyn_sized_stack, 0
	.set _Z16warp_load_kernelILj256ELj4ELj32ELN6hipcub17WarpLoadAlgorithmE0EiEvPT3_S3_.has_recursion, 0
	.set _Z16warp_load_kernelILj256ELj4ELj32ELN6hipcub17WarpLoadAlgorithmE0EiEvPT3_S3_.has_indirect_call, 0
	.section	.AMDGPU.csdata,"",@progbits
; Kernel info:
; codeLenInByte = 256
; TotalNumSgprs: 11
; NumVgprs: 16
; ScratchSize: 0
; MemoryBound: 0
; FloatMode: 240
; IeeeMode: 1
; LDSByteSize: 0 bytes/workgroup (compile time only)
; SGPRBlocks: 1
; VGPRBlocks: 3
; NumSGPRsForWavesPerEU: 11
; NumVGPRsForWavesPerEU: 16
; Occupancy: 10
; WaveLimiterHint : 0
; COMPUTE_PGM_RSRC2:SCRATCH_EN: 0
; COMPUTE_PGM_RSRC2:USER_SGPR: 6
; COMPUTE_PGM_RSRC2:TRAP_HANDLER: 0
; COMPUTE_PGM_RSRC2:TGID_X_EN: 1
; COMPUTE_PGM_RSRC2:TGID_Y_EN: 0
; COMPUTE_PGM_RSRC2:TGID_Z_EN: 0
; COMPUTE_PGM_RSRC2:TIDIG_COMP_CNT: 0
	.section	.text._Z16warp_load_kernelILj256ELj4ELj32ELN6hipcub17WarpLoadAlgorithmE1EiEvPT3_S3_,"axG",@progbits,_Z16warp_load_kernelILj256ELj4ELj32ELN6hipcub17WarpLoadAlgorithmE1EiEvPT3_S3_,comdat
	.protected	_Z16warp_load_kernelILj256ELj4ELj32ELN6hipcub17WarpLoadAlgorithmE1EiEvPT3_S3_ ; -- Begin function _Z16warp_load_kernelILj256ELj4ELj32ELN6hipcub17WarpLoadAlgorithmE1EiEvPT3_S3_
	.globl	_Z16warp_load_kernelILj256ELj4ELj32ELN6hipcub17WarpLoadAlgorithmE1EiEvPT3_S3_
	.p2align	8
	.type	_Z16warp_load_kernelILj256ELj4ELj32ELN6hipcub17WarpLoadAlgorithmE1EiEvPT3_S3_,@function
_Z16warp_load_kernelILj256ELj4ELj32ELN6hipcub17WarpLoadAlgorithmE1EiEvPT3_S3_: ; @_Z16warp_load_kernelILj256ELj4ELj32ELN6hipcub17WarpLoadAlgorithmE1EiEvPT3_S3_
; %bb.0:
	v_mbcnt_lo_u32_b32 v1, -1, 0
	v_mbcnt_hi_u32_b32 v1, -1, v1
	s_load_dwordx4 s[0:3], s[4:5], 0x0
	v_and_b32_e32 v5, 31, v1
	v_lshlrev_b32_e32 v1, 2, v0
	s_lshl_b32 s4, s6, 10
	v_and_b32_e32 v1, 0x380, v1
	v_or_b32_e32 v1, s4, v1
	v_mov_b32_e32 v2, 0
	v_lshlrev_b64 v[3:4], 2, v[1:2]
	s_waitcnt lgkmcnt(0)
	v_mov_b32_e32 v1, s1
	v_add_co_u32_e32 v3, vcc, s0, v3
	v_addc_co_u32_e32 v1, vcc, v1, v4, vcc
	v_lshlrev_b32_e32 v4, 2, v5
	v_add_co_u32_e32 v3, vcc, v3, v4
	v_addc_co_u32_e32 v4, vcc, 0, v1, vcc
	global_load_dword v9, v[3:4], off
	global_load_dword v10, v[3:4], off offset:128
	global_load_dword v11, v[3:4], off offset:256
	;; [unrolled: 1-line block ×3, first 2 shown]
	v_or_b32_e32 v1, s4, v0
	v_lshlrev_b64 v[7:8], 2, v[1:2]
	v_mov_b32_e32 v4, v2
	v_or_b32_e32 v3, 0x100, v1
	v_mov_b32_e32 v13, s3
	v_lshlrev_b64 v[3:4], 2, v[3:4]
	v_add_co_u32_e32 v7, vcc, s2, v7
	v_mov_b32_e32 v6, v2
	v_or_b32_e32 v5, 0x200, v1
	v_or_b32_e32 v1, 0x300, v1
	v_addc_co_u32_e32 v8, vcc, v13, v8, vcc
	v_mov_b32_e32 v14, s3
	v_lshlrev_b64 v[5:6], 2, v[5:6]
	v_lshlrev_b64 v[0:1], 2, v[1:2]
	v_add_co_u32_e32 v2, vcc, s2, v3
	v_addc_co_u32_e32 v3, vcc, v14, v4, vcc
	v_mov_b32_e32 v15, s3
	v_add_co_u32_e32 v4, vcc, s2, v5
	v_addc_co_u32_e32 v5, vcc, v15, v6, vcc
	v_mov_b32_e32 v16, s3
	v_add_co_u32_e32 v0, vcc, s2, v0
	v_addc_co_u32_e32 v1, vcc, v16, v1, vcc
	s_waitcnt vmcnt(3)
	global_store_dword v[7:8], v9, off
	s_waitcnt vmcnt(3)
	global_store_dword v[2:3], v10, off
	;; [unrolled: 2-line block ×4, first 2 shown]
	s_endpgm
	.section	.rodata,"a",@progbits
	.p2align	6, 0x0
	.amdhsa_kernel _Z16warp_load_kernelILj256ELj4ELj32ELN6hipcub17WarpLoadAlgorithmE1EiEvPT3_S3_
		.amdhsa_group_segment_fixed_size 0
		.amdhsa_private_segment_fixed_size 0
		.amdhsa_kernarg_size 16
		.amdhsa_user_sgpr_count 6
		.amdhsa_user_sgpr_private_segment_buffer 1
		.amdhsa_user_sgpr_dispatch_ptr 0
		.amdhsa_user_sgpr_queue_ptr 0
		.amdhsa_user_sgpr_kernarg_segment_ptr 1
		.amdhsa_user_sgpr_dispatch_id 0
		.amdhsa_user_sgpr_flat_scratch_init 0
		.amdhsa_user_sgpr_private_segment_size 0
		.amdhsa_uses_dynamic_stack 0
		.amdhsa_system_sgpr_private_segment_wavefront_offset 0
		.amdhsa_system_sgpr_workgroup_id_x 1
		.amdhsa_system_sgpr_workgroup_id_y 0
		.amdhsa_system_sgpr_workgroup_id_z 0
		.amdhsa_system_sgpr_workgroup_info 0
		.amdhsa_system_vgpr_workitem_id 0
		.amdhsa_next_free_vgpr 17
		.amdhsa_next_free_sgpr 7
		.amdhsa_reserve_vcc 1
		.amdhsa_reserve_flat_scratch 0
		.amdhsa_float_round_mode_32 0
		.amdhsa_float_round_mode_16_64 0
		.amdhsa_float_denorm_mode_32 3
		.amdhsa_float_denorm_mode_16_64 3
		.amdhsa_dx10_clamp 1
		.amdhsa_ieee_mode 1
		.amdhsa_fp16_overflow 0
		.amdhsa_exception_fp_ieee_invalid_op 0
		.amdhsa_exception_fp_denorm_src 0
		.amdhsa_exception_fp_ieee_div_zero 0
		.amdhsa_exception_fp_ieee_overflow 0
		.amdhsa_exception_fp_ieee_underflow 0
		.amdhsa_exception_fp_ieee_inexact 0
		.amdhsa_exception_int_div_zero 0
	.end_amdhsa_kernel
	.section	.text._Z16warp_load_kernelILj256ELj4ELj32ELN6hipcub17WarpLoadAlgorithmE1EiEvPT3_S3_,"axG",@progbits,_Z16warp_load_kernelILj256ELj4ELj32ELN6hipcub17WarpLoadAlgorithmE1EiEvPT3_S3_,comdat
.Lfunc_end1:
	.size	_Z16warp_load_kernelILj256ELj4ELj32ELN6hipcub17WarpLoadAlgorithmE1EiEvPT3_S3_, .Lfunc_end1-_Z16warp_load_kernelILj256ELj4ELj32ELN6hipcub17WarpLoadAlgorithmE1EiEvPT3_S3_
                                        ; -- End function
	.set _Z16warp_load_kernelILj256ELj4ELj32ELN6hipcub17WarpLoadAlgorithmE1EiEvPT3_S3_.num_vgpr, 17
	.set _Z16warp_load_kernelILj256ELj4ELj32ELN6hipcub17WarpLoadAlgorithmE1EiEvPT3_S3_.num_agpr, 0
	.set _Z16warp_load_kernelILj256ELj4ELj32ELN6hipcub17WarpLoadAlgorithmE1EiEvPT3_S3_.numbered_sgpr, 7
	.set _Z16warp_load_kernelILj256ELj4ELj32ELN6hipcub17WarpLoadAlgorithmE1EiEvPT3_S3_.num_named_barrier, 0
	.set _Z16warp_load_kernelILj256ELj4ELj32ELN6hipcub17WarpLoadAlgorithmE1EiEvPT3_S3_.private_seg_size, 0
	.set _Z16warp_load_kernelILj256ELj4ELj32ELN6hipcub17WarpLoadAlgorithmE1EiEvPT3_S3_.uses_vcc, 1
	.set _Z16warp_load_kernelILj256ELj4ELj32ELN6hipcub17WarpLoadAlgorithmE1EiEvPT3_S3_.uses_flat_scratch, 0
	.set _Z16warp_load_kernelILj256ELj4ELj32ELN6hipcub17WarpLoadAlgorithmE1EiEvPT3_S3_.has_dyn_sized_stack, 0
	.set _Z16warp_load_kernelILj256ELj4ELj32ELN6hipcub17WarpLoadAlgorithmE1EiEvPT3_S3_.has_recursion, 0
	.set _Z16warp_load_kernelILj256ELj4ELj32ELN6hipcub17WarpLoadAlgorithmE1EiEvPT3_S3_.has_indirect_call, 0
	.section	.AMDGPU.csdata,"",@progbits
; Kernel info:
; codeLenInByte = 288
; TotalNumSgprs: 11
; NumVgprs: 17
; ScratchSize: 0
; MemoryBound: 0
; FloatMode: 240
; IeeeMode: 1
; LDSByteSize: 0 bytes/workgroup (compile time only)
; SGPRBlocks: 1
; VGPRBlocks: 4
; NumSGPRsForWavesPerEU: 11
; NumVGPRsForWavesPerEU: 17
; Occupancy: 10
; WaveLimiterHint : 1
; COMPUTE_PGM_RSRC2:SCRATCH_EN: 0
; COMPUTE_PGM_RSRC2:USER_SGPR: 6
; COMPUTE_PGM_RSRC2:TRAP_HANDLER: 0
; COMPUTE_PGM_RSRC2:TGID_X_EN: 1
; COMPUTE_PGM_RSRC2:TGID_Y_EN: 0
; COMPUTE_PGM_RSRC2:TGID_Z_EN: 0
; COMPUTE_PGM_RSRC2:TIDIG_COMP_CNT: 0
	.section	.text._Z16warp_load_kernelILj256ELj4ELj32ELN6hipcub17WarpLoadAlgorithmE2EiEvPT3_S3_,"axG",@progbits,_Z16warp_load_kernelILj256ELj4ELj32ELN6hipcub17WarpLoadAlgorithmE2EiEvPT3_S3_,comdat
	.protected	_Z16warp_load_kernelILj256ELj4ELj32ELN6hipcub17WarpLoadAlgorithmE2EiEvPT3_S3_ ; -- Begin function _Z16warp_load_kernelILj256ELj4ELj32ELN6hipcub17WarpLoadAlgorithmE2EiEvPT3_S3_
	.globl	_Z16warp_load_kernelILj256ELj4ELj32ELN6hipcub17WarpLoadAlgorithmE2EiEvPT3_S3_
	.p2align	8
	.type	_Z16warp_load_kernelILj256ELj4ELj32ELN6hipcub17WarpLoadAlgorithmE2EiEvPT3_S3_,@function
_Z16warp_load_kernelILj256ELj4ELj32ELN6hipcub17WarpLoadAlgorithmE2EiEvPT3_S3_: ; @_Z16warp_load_kernelILj256ELj4ELj32ELN6hipcub17WarpLoadAlgorithmE2EiEvPT3_S3_
; %bb.0:
	v_mbcnt_lo_u32_b32 v1, -1, 0
	v_mbcnt_hi_u32_b32 v1, -1, v1
	s_load_dwordx4 s[0:3], s[4:5], 0x0
	v_and_b32_e32 v3, 31, v1
	v_lshlrev_b32_e32 v1, 2, v0
	s_lshl_b32 s4, s6, 10
	v_and_b32_e32 v1, 0x380, v1
	v_or_b32_e32 v5, s4, v1
	v_mov_b32_e32 v6, 0
	v_lshlrev_b64 v[1:2], 2, v[5:6]
	s_waitcnt lgkmcnt(0)
	v_mov_b32_e32 v4, s1
	v_add_co_u32_e32 v1, vcc, s0, v1
	v_addc_co_u32_e32 v2, vcc, v4, v2, vcc
	v_lshlrev_b32_e32 v3, 4, v3
	v_add_co_u32_e32 v1, vcc, v1, v3
	v_addc_co_u32_e32 v2, vcc, 0, v2, vcc
	global_load_dwordx4 v[1:4], v[1:2], off
	v_or_b32_e32 v5, s4, v0
	v_lshlrev_b64 v[11:12], 2, v[5:6]
	v_mov_b32_e32 v8, v6
	v_or_b32_e32 v7, 0x100, v5
	v_mov_b32_e32 v0, s3
	v_lshlrev_b64 v[7:8], 2, v[7:8]
	v_add_co_u32_e32 v11, vcc, s2, v11
	v_mov_b32_e32 v10, v6
	v_or_b32_e32 v9, 0x200, v5
	v_addc_co_u32_e32 v12, vcc, v0, v12, vcc
	v_mov_b32_e32 v13, s3
	v_lshlrev_b64 v[9:10], 2, v[9:10]
	v_add_co_u32_e32 v7, vcc, s2, v7
	v_or_b32_e32 v5, 0x300, v5
	v_addc_co_u32_e32 v8, vcc, v13, v8, vcc
	v_mov_b32_e32 v14, s3
	v_lshlrev_b64 v[5:6], 2, v[5:6]
	v_add_co_u32_e32 v9, vcc, s2, v9
	v_addc_co_u32_e32 v10, vcc, v14, v10, vcc
	v_mov_b32_e32 v15, s3
	v_add_co_u32_e32 v5, vcc, s2, v5
	v_addc_co_u32_e32 v6, vcc, v15, v6, vcc
	s_waitcnt vmcnt(0)
	global_store_dword v[11:12], v1, off
	global_store_dword v[7:8], v2, off
	;; [unrolled: 1-line block ×4, first 2 shown]
	s_endpgm
	.section	.rodata,"a",@progbits
	.p2align	6, 0x0
	.amdhsa_kernel _Z16warp_load_kernelILj256ELj4ELj32ELN6hipcub17WarpLoadAlgorithmE2EiEvPT3_S3_
		.amdhsa_group_segment_fixed_size 0
		.amdhsa_private_segment_fixed_size 0
		.amdhsa_kernarg_size 16
		.amdhsa_user_sgpr_count 6
		.amdhsa_user_sgpr_private_segment_buffer 1
		.amdhsa_user_sgpr_dispatch_ptr 0
		.amdhsa_user_sgpr_queue_ptr 0
		.amdhsa_user_sgpr_kernarg_segment_ptr 1
		.amdhsa_user_sgpr_dispatch_id 0
		.amdhsa_user_sgpr_flat_scratch_init 0
		.amdhsa_user_sgpr_private_segment_size 0
		.amdhsa_uses_dynamic_stack 0
		.amdhsa_system_sgpr_private_segment_wavefront_offset 0
		.amdhsa_system_sgpr_workgroup_id_x 1
		.amdhsa_system_sgpr_workgroup_id_y 0
		.amdhsa_system_sgpr_workgroup_id_z 0
		.amdhsa_system_sgpr_workgroup_info 0
		.amdhsa_system_vgpr_workitem_id 0
		.amdhsa_next_free_vgpr 16
		.amdhsa_next_free_sgpr 7
		.amdhsa_reserve_vcc 1
		.amdhsa_reserve_flat_scratch 0
		.amdhsa_float_round_mode_32 0
		.amdhsa_float_round_mode_16_64 0
		.amdhsa_float_denorm_mode_32 3
		.amdhsa_float_denorm_mode_16_64 3
		.amdhsa_dx10_clamp 1
		.amdhsa_ieee_mode 1
		.amdhsa_fp16_overflow 0
		.amdhsa_exception_fp_ieee_invalid_op 0
		.amdhsa_exception_fp_denorm_src 0
		.amdhsa_exception_fp_ieee_div_zero 0
		.amdhsa_exception_fp_ieee_overflow 0
		.amdhsa_exception_fp_ieee_underflow 0
		.amdhsa_exception_fp_ieee_inexact 0
		.amdhsa_exception_int_div_zero 0
	.end_amdhsa_kernel
	.section	.text._Z16warp_load_kernelILj256ELj4ELj32ELN6hipcub17WarpLoadAlgorithmE2EiEvPT3_S3_,"axG",@progbits,_Z16warp_load_kernelILj256ELj4ELj32ELN6hipcub17WarpLoadAlgorithmE2EiEvPT3_S3_,comdat
.Lfunc_end2:
	.size	_Z16warp_load_kernelILj256ELj4ELj32ELN6hipcub17WarpLoadAlgorithmE2EiEvPT3_S3_, .Lfunc_end2-_Z16warp_load_kernelILj256ELj4ELj32ELN6hipcub17WarpLoadAlgorithmE2EiEvPT3_S3_
                                        ; -- End function
	.set _Z16warp_load_kernelILj256ELj4ELj32ELN6hipcub17WarpLoadAlgorithmE2EiEvPT3_S3_.num_vgpr, 16
	.set _Z16warp_load_kernelILj256ELj4ELj32ELN6hipcub17WarpLoadAlgorithmE2EiEvPT3_S3_.num_agpr, 0
	.set _Z16warp_load_kernelILj256ELj4ELj32ELN6hipcub17WarpLoadAlgorithmE2EiEvPT3_S3_.numbered_sgpr, 7
	.set _Z16warp_load_kernelILj256ELj4ELj32ELN6hipcub17WarpLoadAlgorithmE2EiEvPT3_S3_.num_named_barrier, 0
	.set _Z16warp_load_kernelILj256ELj4ELj32ELN6hipcub17WarpLoadAlgorithmE2EiEvPT3_S3_.private_seg_size, 0
	.set _Z16warp_load_kernelILj256ELj4ELj32ELN6hipcub17WarpLoadAlgorithmE2EiEvPT3_S3_.uses_vcc, 1
	.set _Z16warp_load_kernelILj256ELj4ELj32ELN6hipcub17WarpLoadAlgorithmE2EiEvPT3_S3_.uses_flat_scratch, 0
	.set _Z16warp_load_kernelILj256ELj4ELj32ELN6hipcub17WarpLoadAlgorithmE2EiEvPT3_S3_.has_dyn_sized_stack, 0
	.set _Z16warp_load_kernelILj256ELj4ELj32ELN6hipcub17WarpLoadAlgorithmE2EiEvPT3_S3_.has_recursion, 0
	.set _Z16warp_load_kernelILj256ELj4ELj32ELN6hipcub17WarpLoadAlgorithmE2EiEvPT3_S3_.has_indirect_call, 0
	.section	.AMDGPU.csdata,"",@progbits
; Kernel info:
; codeLenInByte = 252
; TotalNumSgprs: 11
; NumVgprs: 16
; ScratchSize: 0
; MemoryBound: 0
; FloatMode: 240
; IeeeMode: 1
; LDSByteSize: 0 bytes/workgroup (compile time only)
; SGPRBlocks: 1
; VGPRBlocks: 3
; NumSGPRsForWavesPerEU: 11
; NumVGPRsForWavesPerEU: 16
; Occupancy: 10
; WaveLimiterHint : 0
; COMPUTE_PGM_RSRC2:SCRATCH_EN: 0
; COMPUTE_PGM_RSRC2:USER_SGPR: 6
; COMPUTE_PGM_RSRC2:TRAP_HANDLER: 0
; COMPUTE_PGM_RSRC2:TGID_X_EN: 1
; COMPUTE_PGM_RSRC2:TGID_Y_EN: 0
; COMPUTE_PGM_RSRC2:TGID_Z_EN: 0
; COMPUTE_PGM_RSRC2:TIDIG_COMP_CNT: 0
	.section	.text._Z16warp_load_kernelILj256ELj4ELj32ELN6hipcub17WarpLoadAlgorithmE3EiEvPT3_S3_,"axG",@progbits,_Z16warp_load_kernelILj256ELj4ELj32ELN6hipcub17WarpLoadAlgorithmE3EiEvPT3_S3_,comdat
	.protected	_Z16warp_load_kernelILj256ELj4ELj32ELN6hipcub17WarpLoadAlgorithmE3EiEvPT3_S3_ ; -- Begin function _Z16warp_load_kernelILj256ELj4ELj32ELN6hipcub17WarpLoadAlgorithmE3EiEvPT3_S3_
	.globl	_Z16warp_load_kernelILj256ELj4ELj32ELN6hipcub17WarpLoadAlgorithmE3EiEvPT3_S3_
	.p2align	8
	.type	_Z16warp_load_kernelILj256ELj4ELj32ELN6hipcub17WarpLoadAlgorithmE3EiEvPT3_S3_,@function
_Z16warp_load_kernelILj256ELj4ELj32ELN6hipcub17WarpLoadAlgorithmE3EiEvPT3_S3_: ; @_Z16warp_load_kernelILj256ELj4ELj32ELN6hipcub17WarpLoadAlgorithmE3EiEvPT3_S3_
; %bb.0:
	s_load_dwordx4 s[0:3], s[4:5], 0x0
	v_mbcnt_lo_u32_b32 v1, -1, 0
	v_lshrrev_b32_e32 v5, 5, v0
	v_mbcnt_hi_u32_b32 v1, -1, v1
	s_lshl_b32 s4, s6, 10
	v_and_b32_e32 v7, 31, v1
	v_lshl_or_b32 v1, v5, 7, s4
	v_mov_b32_e32 v2, 0
	v_lshlrev_b64 v[3:4], 2, v[1:2]
	s_waitcnt lgkmcnt(0)
	v_mov_b32_e32 v1, s1
	v_add_co_u32_e32 v3, vcc, s0, v3
	v_addc_co_u32_e32 v1, vcc, v1, v4, vcc
	v_lshlrev_b32_e32 v8, 2, v7
	v_add_co_u32_e32 v3, vcc, v3, v8
	v_addc_co_u32_e32 v4, vcc, 0, v1, vcc
	global_load_dword v13, v[3:4], off
	global_load_dword v14, v[3:4], off offset:128
	global_load_dword v15, v[3:4], off offset:256
	;; [unrolled: 1-line block ×3, first 2 shown]
	v_lshlrev_b32_e32 v3, 9, v5
	v_or_b32_e32 v1, s4, v0
	v_lshl_or_b32 v17, v7, 4, v3
	v_or_b32_e32 v0, v3, v8
	v_lshlrev_b64 v[7:8], 2, v[1:2]
	v_mov_b32_e32 v4, v2
	v_or_b32_e32 v3, 0x100, v1
	v_or_b32_e32 v5, 0x200, v1
	;; [unrolled: 1-line block ×3, first 2 shown]
	v_lshlrev_b64 v[3:4], 2, v[3:4]
	v_lshlrev_b64 v[9:10], 2, v[1:2]
	v_mov_b32_e32 v1, s3
	v_add_co_u32_e32 v7, vcc, s2, v7
	v_addc_co_u32_e32 v8, vcc, v1, v8, vcc
	v_mov_b32_e32 v6, v2
	v_mov_b32_e32 v2, s3
	v_add_co_u32_e32 v11, vcc, s2, v3
	v_lshlrev_b64 v[5:6], 2, v[5:6]
	v_addc_co_u32_e32 v12, vcc, v2, v4, vcc
	v_mov_b32_e32 v18, s3
	v_add_co_u32_e32 v4, vcc, s2, v5
	v_addc_co_u32_e32 v5, vcc, v18, v6, vcc
	v_mov_b32_e32 v19, s3
	v_add_co_u32_e32 v9, vcc, s2, v9
	v_addc_co_u32_e32 v10, vcc, v19, v10, vcc
	s_waitcnt vmcnt(2)
	ds_write2_b32 v0, v13, v14 offset1:32
	s_waitcnt vmcnt(0)
	ds_write2_b32 v0, v15, v16 offset0:64 offset1:96
	; wave barrier
	ds_read_b128 v[0:3], v17
	s_waitcnt lgkmcnt(0)
	global_store_dword v[7:8], v0, off
	global_store_dword v[11:12], v1, off
	;; [unrolled: 1-line block ×4, first 2 shown]
	s_endpgm
	.section	.rodata,"a",@progbits
	.p2align	6, 0x0
	.amdhsa_kernel _Z16warp_load_kernelILj256ELj4ELj32ELN6hipcub17WarpLoadAlgorithmE3EiEvPT3_S3_
		.amdhsa_group_segment_fixed_size 4096
		.amdhsa_private_segment_fixed_size 0
		.amdhsa_kernarg_size 16
		.amdhsa_user_sgpr_count 6
		.amdhsa_user_sgpr_private_segment_buffer 1
		.amdhsa_user_sgpr_dispatch_ptr 0
		.amdhsa_user_sgpr_queue_ptr 0
		.amdhsa_user_sgpr_kernarg_segment_ptr 1
		.amdhsa_user_sgpr_dispatch_id 0
		.amdhsa_user_sgpr_flat_scratch_init 0
		.amdhsa_user_sgpr_private_segment_size 0
		.amdhsa_uses_dynamic_stack 0
		.amdhsa_system_sgpr_private_segment_wavefront_offset 0
		.amdhsa_system_sgpr_workgroup_id_x 1
		.amdhsa_system_sgpr_workgroup_id_y 0
		.amdhsa_system_sgpr_workgroup_id_z 0
		.amdhsa_system_sgpr_workgroup_info 0
		.amdhsa_system_vgpr_workitem_id 0
		.amdhsa_next_free_vgpr 20
		.amdhsa_next_free_sgpr 7
		.amdhsa_reserve_vcc 1
		.amdhsa_reserve_flat_scratch 0
		.amdhsa_float_round_mode_32 0
		.amdhsa_float_round_mode_16_64 0
		.amdhsa_float_denorm_mode_32 3
		.amdhsa_float_denorm_mode_16_64 3
		.amdhsa_dx10_clamp 1
		.amdhsa_ieee_mode 1
		.amdhsa_fp16_overflow 0
		.amdhsa_exception_fp_ieee_invalid_op 0
		.amdhsa_exception_fp_denorm_src 0
		.amdhsa_exception_fp_ieee_div_zero 0
		.amdhsa_exception_fp_ieee_overflow 0
		.amdhsa_exception_fp_ieee_underflow 0
		.amdhsa_exception_fp_ieee_inexact 0
		.amdhsa_exception_int_div_zero 0
	.end_amdhsa_kernel
	.section	.text._Z16warp_load_kernelILj256ELj4ELj32ELN6hipcub17WarpLoadAlgorithmE3EiEvPT3_S3_,"axG",@progbits,_Z16warp_load_kernelILj256ELj4ELj32ELN6hipcub17WarpLoadAlgorithmE3EiEvPT3_S3_,comdat
.Lfunc_end3:
	.size	_Z16warp_load_kernelILj256ELj4ELj32ELN6hipcub17WarpLoadAlgorithmE3EiEvPT3_S3_, .Lfunc_end3-_Z16warp_load_kernelILj256ELj4ELj32ELN6hipcub17WarpLoadAlgorithmE3EiEvPT3_S3_
                                        ; -- End function
	.set _Z16warp_load_kernelILj256ELj4ELj32ELN6hipcub17WarpLoadAlgorithmE3EiEvPT3_S3_.num_vgpr, 20
	.set _Z16warp_load_kernelILj256ELj4ELj32ELN6hipcub17WarpLoadAlgorithmE3EiEvPT3_S3_.num_agpr, 0
	.set _Z16warp_load_kernelILj256ELj4ELj32ELN6hipcub17WarpLoadAlgorithmE3EiEvPT3_S3_.numbered_sgpr, 7
	.set _Z16warp_load_kernelILj256ELj4ELj32ELN6hipcub17WarpLoadAlgorithmE3EiEvPT3_S3_.num_named_barrier, 0
	.set _Z16warp_load_kernelILj256ELj4ELj32ELN6hipcub17WarpLoadAlgorithmE3EiEvPT3_S3_.private_seg_size, 0
	.set _Z16warp_load_kernelILj256ELj4ELj32ELN6hipcub17WarpLoadAlgorithmE3EiEvPT3_S3_.uses_vcc, 1
	.set _Z16warp_load_kernelILj256ELj4ELj32ELN6hipcub17WarpLoadAlgorithmE3EiEvPT3_S3_.uses_flat_scratch, 0
	.set _Z16warp_load_kernelILj256ELj4ELj32ELN6hipcub17WarpLoadAlgorithmE3EiEvPT3_S3_.has_dyn_sized_stack, 0
	.set _Z16warp_load_kernelILj256ELj4ELj32ELN6hipcub17WarpLoadAlgorithmE3EiEvPT3_S3_.has_recursion, 0
	.set _Z16warp_load_kernelILj256ELj4ELj32ELN6hipcub17WarpLoadAlgorithmE3EiEvPT3_S3_.has_indirect_call, 0
	.section	.AMDGPU.csdata,"",@progbits
; Kernel info:
; codeLenInByte = 320
; TotalNumSgprs: 11
; NumVgprs: 20
; ScratchSize: 0
; MemoryBound: 0
; FloatMode: 240
; IeeeMode: 1
; LDSByteSize: 4096 bytes/workgroup (compile time only)
; SGPRBlocks: 1
; VGPRBlocks: 4
; NumSGPRsForWavesPerEU: 11
; NumVGPRsForWavesPerEU: 20
; Occupancy: 10
; WaveLimiterHint : 1
; COMPUTE_PGM_RSRC2:SCRATCH_EN: 0
; COMPUTE_PGM_RSRC2:USER_SGPR: 6
; COMPUTE_PGM_RSRC2:TRAP_HANDLER: 0
; COMPUTE_PGM_RSRC2:TGID_X_EN: 1
; COMPUTE_PGM_RSRC2:TGID_Y_EN: 0
; COMPUTE_PGM_RSRC2:TGID_Z_EN: 0
; COMPUTE_PGM_RSRC2:TIDIG_COMP_CNT: 0
	.section	.text._Z16warp_load_kernelILj256ELj8ELj32ELN6hipcub17WarpLoadAlgorithmE0EiEvPT3_S3_,"axG",@progbits,_Z16warp_load_kernelILj256ELj8ELj32ELN6hipcub17WarpLoadAlgorithmE0EiEvPT3_S3_,comdat
	.protected	_Z16warp_load_kernelILj256ELj8ELj32ELN6hipcub17WarpLoadAlgorithmE0EiEvPT3_S3_ ; -- Begin function _Z16warp_load_kernelILj256ELj8ELj32ELN6hipcub17WarpLoadAlgorithmE0EiEvPT3_S3_
	.globl	_Z16warp_load_kernelILj256ELj8ELj32ELN6hipcub17WarpLoadAlgorithmE0EiEvPT3_S3_
	.p2align	8
	.type	_Z16warp_load_kernelILj256ELj8ELj32ELN6hipcub17WarpLoadAlgorithmE0EiEvPT3_S3_,@function
_Z16warp_load_kernelILj256ELj8ELj32ELN6hipcub17WarpLoadAlgorithmE0EiEvPT3_S3_: ; @_Z16warp_load_kernelILj256ELj8ELj32ELN6hipcub17WarpLoadAlgorithmE0EiEvPT3_S3_
; %bb.0:
	v_mbcnt_lo_u32_b32 v1, -1, 0
	s_load_dwordx4 s[0:3], s[4:5], 0x0
	v_mbcnt_hi_u32_b32 v3, -1, v1
	v_lshlrev_b32_e32 v1, 3, v0
	s_lshl_b32 s4, s6, 11
	v_and_b32_e32 v1, 0x700, v1
	v_or_b32_e32 v5, s4, v1
	v_mov_b32_e32 v6, 0
	v_lshlrev_b64 v[1:2], 2, v[5:6]
	s_waitcnt lgkmcnt(0)
	v_mov_b32_e32 v4, s1
	v_add_co_u32_e32 v1, vcc, s0, v1
	v_lshlrev_b32_e32 v3, 5, v3
	v_addc_co_u32_e32 v2, vcc, v4, v2, vcc
	v_and_b32_e32 v3, 0x3e0, v3
	v_or_b32_e32 v5, s4, v0
	v_add_co_u32_e32 v7, vcc, v1, v3
	v_lshlrev_b64 v[9:10], 2, v[5:6]
	v_addc_co_u32_e32 v8, vcc, 0, v2, vcc
	v_or_b32_e32 v11, 0x400, v5
	v_mov_b32_e32 v12, v6
	v_mov_b32_e32 v0, s3
	v_add_co_u32_e32 v9, vcc, s2, v9
	v_lshlrev_b64 v[11:12], 2, v[11:12]
	v_addc_co_u32_e32 v10, vcc, v0, v10, vcc
	v_or_b32_e32 v13, 0x500, v5
	v_mov_b32_e32 v14, v6
	v_add_co_u32_e32 v11, vcc, s2, v11
	v_lshlrev_b64 v[13:14], 2, v[13:14]
	v_addc_co_u32_e32 v12, vcc, v0, v12, vcc
	v_or_b32_e32 v15, 0x600, v5
	v_mov_b32_e32 v16, v6
	v_add_co_u32_e32 v13, vcc, s2, v13
	v_lshlrev_b64 v[15:16], 2, v[15:16]
	global_load_dwordx4 v[1:4], v[7:8], off
	v_addc_co_u32_e32 v14, vcc, v0, v14, vcc
	v_or_b32_e32 v5, 0x700, v5
	v_add_co_u32_e32 v15, vcc, s2, v15
	v_lshlrev_b64 v[5:6], 2, v[5:6]
	v_addc_co_u32_e32 v16, vcc, v0, v16, vcc
	v_add_co_u32_e32 v17, vcc, s2, v5
	v_addc_co_u32_e32 v18, vcc, v0, v6, vcc
	global_load_dwordx4 v[5:8], v[7:8], off offset:16
	s_waitcnt vmcnt(1)
	global_store_dword v[9:10], v1, off
	global_store_dword v[9:10], v2, off offset:1024
	global_store_dword v[9:10], v3, off offset:2048
	;; [unrolled: 1-line block ×3, first 2 shown]
	s_waitcnt vmcnt(4)
	global_store_dword v[11:12], v5, off
	global_store_dword v[13:14], v6, off
	;; [unrolled: 1-line block ×4, first 2 shown]
	s_endpgm
	.section	.rodata,"a",@progbits
	.p2align	6, 0x0
	.amdhsa_kernel _Z16warp_load_kernelILj256ELj8ELj32ELN6hipcub17WarpLoadAlgorithmE0EiEvPT3_S3_
		.amdhsa_group_segment_fixed_size 0
		.amdhsa_private_segment_fixed_size 0
		.amdhsa_kernarg_size 16
		.amdhsa_user_sgpr_count 6
		.amdhsa_user_sgpr_private_segment_buffer 1
		.amdhsa_user_sgpr_dispatch_ptr 0
		.amdhsa_user_sgpr_queue_ptr 0
		.amdhsa_user_sgpr_kernarg_segment_ptr 1
		.amdhsa_user_sgpr_dispatch_id 0
		.amdhsa_user_sgpr_flat_scratch_init 0
		.amdhsa_user_sgpr_private_segment_size 0
		.amdhsa_uses_dynamic_stack 0
		.amdhsa_system_sgpr_private_segment_wavefront_offset 0
		.amdhsa_system_sgpr_workgroup_id_x 1
		.amdhsa_system_sgpr_workgroup_id_y 0
		.amdhsa_system_sgpr_workgroup_id_z 0
		.amdhsa_system_sgpr_workgroup_info 0
		.amdhsa_system_vgpr_workitem_id 0
		.amdhsa_next_free_vgpr 19
		.amdhsa_next_free_sgpr 7
		.amdhsa_reserve_vcc 1
		.amdhsa_reserve_flat_scratch 0
		.amdhsa_float_round_mode_32 0
		.amdhsa_float_round_mode_16_64 0
		.amdhsa_float_denorm_mode_32 3
		.amdhsa_float_denorm_mode_16_64 3
		.amdhsa_dx10_clamp 1
		.amdhsa_ieee_mode 1
		.amdhsa_fp16_overflow 0
		.amdhsa_exception_fp_ieee_invalid_op 0
		.amdhsa_exception_fp_denorm_src 0
		.amdhsa_exception_fp_ieee_div_zero 0
		.amdhsa_exception_fp_ieee_overflow 0
		.amdhsa_exception_fp_ieee_underflow 0
		.amdhsa_exception_fp_ieee_inexact 0
		.amdhsa_exception_int_div_zero 0
	.end_amdhsa_kernel
	.section	.text._Z16warp_load_kernelILj256ELj8ELj32ELN6hipcub17WarpLoadAlgorithmE0EiEvPT3_S3_,"axG",@progbits,_Z16warp_load_kernelILj256ELj8ELj32ELN6hipcub17WarpLoadAlgorithmE0EiEvPT3_S3_,comdat
.Lfunc_end4:
	.size	_Z16warp_load_kernelILj256ELj8ELj32ELN6hipcub17WarpLoadAlgorithmE0EiEvPT3_S3_, .Lfunc_end4-_Z16warp_load_kernelILj256ELj8ELj32ELN6hipcub17WarpLoadAlgorithmE0EiEvPT3_S3_
                                        ; -- End function
	.set _Z16warp_load_kernelILj256ELj8ELj32ELN6hipcub17WarpLoadAlgorithmE0EiEvPT3_S3_.num_vgpr, 19
	.set _Z16warp_load_kernelILj256ELj8ELj32ELN6hipcub17WarpLoadAlgorithmE0EiEvPT3_S3_.num_agpr, 0
	.set _Z16warp_load_kernelILj256ELj8ELj32ELN6hipcub17WarpLoadAlgorithmE0EiEvPT3_S3_.numbered_sgpr, 7
	.set _Z16warp_load_kernelILj256ELj8ELj32ELN6hipcub17WarpLoadAlgorithmE0EiEvPT3_S3_.num_named_barrier, 0
	.set _Z16warp_load_kernelILj256ELj8ELj32ELN6hipcub17WarpLoadAlgorithmE0EiEvPT3_S3_.private_seg_size, 0
	.set _Z16warp_load_kernelILj256ELj8ELj32ELN6hipcub17WarpLoadAlgorithmE0EiEvPT3_S3_.uses_vcc, 1
	.set _Z16warp_load_kernelILj256ELj8ELj32ELN6hipcub17WarpLoadAlgorithmE0EiEvPT3_S3_.uses_flat_scratch, 0
	.set _Z16warp_load_kernelILj256ELj8ELj32ELN6hipcub17WarpLoadAlgorithmE0EiEvPT3_S3_.has_dyn_sized_stack, 0
	.set _Z16warp_load_kernelILj256ELj8ELj32ELN6hipcub17WarpLoadAlgorithmE0EiEvPT3_S3_.has_recursion, 0
	.set _Z16warp_load_kernelILj256ELj8ELj32ELN6hipcub17WarpLoadAlgorithmE0EiEvPT3_S3_.has_indirect_call, 0
	.section	.AMDGPU.csdata,"",@progbits
; Kernel info:
; codeLenInByte = 316
; TotalNumSgprs: 11
; NumVgprs: 19
; ScratchSize: 0
; MemoryBound: 0
; FloatMode: 240
; IeeeMode: 1
; LDSByteSize: 0 bytes/workgroup (compile time only)
; SGPRBlocks: 1
; VGPRBlocks: 4
; NumSGPRsForWavesPerEU: 11
; NumVGPRsForWavesPerEU: 19
; Occupancy: 10
; WaveLimiterHint : 1
; COMPUTE_PGM_RSRC2:SCRATCH_EN: 0
; COMPUTE_PGM_RSRC2:USER_SGPR: 6
; COMPUTE_PGM_RSRC2:TRAP_HANDLER: 0
; COMPUTE_PGM_RSRC2:TGID_X_EN: 1
; COMPUTE_PGM_RSRC2:TGID_Y_EN: 0
; COMPUTE_PGM_RSRC2:TGID_Z_EN: 0
; COMPUTE_PGM_RSRC2:TIDIG_COMP_CNT: 0
	.section	.text._Z16warp_load_kernelILj256ELj8ELj32ELN6hipcub17WarpLoadAlgorithmE1EiEvPT3_S3_,"axG",@progbits,_Z16warp_load_kernelILj256ELj8ELj32ELN6hipcub17WarpLoadAlgorithmE1EiEvPT3_S3_,comdat
	.protected	_Z16warp_load_kernelILj256ELj8ELj32ELN6hipcub17WarpLoadAlgorithmE1EiEvPT3_S3_ ; -- Begin function _Z16warp_load_kernelILj256ELj8ELj32ELN6hipcub17WarpLoadAlgorithmE1EiEvPT3_S3_
	.globl	_Z16warp_load_kernelILj256ELj8ELj32ELN6hipcub17WarpLoadAlgorithmE1EiEvPT3_S3_
	.p2align	8
	.type	_Z16warp_load_kernelILj256ELj8ELj32ELN6hipcub17WarpLoadAlgorithmE1EiEvPT3_S3_,@function
_Z16warp_load_kernelILj256ELj8ELj32ELN6hipcub17WarpLoadAlgorithmE1EiEvPT3_S3_: ; @_Z16warp_load_kernelILj256ELj8ELj32ELN6hipcub17WarpLoadAlgorithmE1EiEvPT3_S3_
; %bb.0:
	v_mbcnt_lo_u32_b32 v1, -1, 0
	v_mbcnt_hi_u32_b32 v1, -1, v1
	s_load_dwordx4 s[0:3], s[4:5], 0x0
	v_and_b32_e32 v5, 31, v1
	v_lshlrev_b32_e32 v1, 3, v0
	s_lshl_b32 s4, s6, 11
	v_and_b32_e32 v1, 0x700, v1
	v_or_b32_e32 v1, s4, v1
	v_mov_b32_e32 v2, 0
	v_lshlrev_b64 v[3:4], 2, v[1:2]
	s_waitcnt lgkmcnt(0)
	v_mov_b32_e32 v1, s1
	v_add_co_u32_e32 v3, vcc, s0, v3
	v_addc_co_u32_e32 v1, vcc, v1, v4, vcc
	v_lshlrev_b32_e32 v4, 2, v5
	v_add_co_u32_e32 v3, vcc, v3, v4
	v_addc_co_u32_e32 v4, vcc, 0, v1, vcc
	v_or_b32_e32 v1, s4, v0
	v_lshlrev_b64 v[5:6], 2, v[1:2]
	v_or_b32_e32 v7, 0x400, v1
	v_mov_b32_e32 v8, v2
	v_mov_b32_e32 v0, s3
	v_add_co_u32_e32 v5, vcc, s2, v5
	v_lshlrev_b64 v[7:8], 2, v[7:8]
	v_addc_co_u32_e32 v6, vcc, v0, v6, vcc
	v_or_b32_e32 v9, 0x500, v1
	v_mov_b32_e32 v10, v2
	v_add_co_u32_e32 v7, vcc, s2, v7
	v_lshlrev_b64 v[9:10], 2, v[9:10]
	v_addc_co_u32_e32 v8, vcc, v0, v8, vcc
	v_or_b32_e32 v11, 0x600, v1
	v_mov_b32_e32 v12, v2
	v_add_co_u32_e32 v9, vcc, s2, v9
	v_lshlrev_b64 v[11:12], 2, v[11:12]
	v_addc_co_u32_e32 v10, vcc, v0, v10, vcc
	v_add_co_u32_e32 v11, vcc, s2, v11
	v_or_b32_e32 v1, 0x700, v1
	v_addc_co_u32_e32 v12, vcc, v0, v12, vcc
	v_lshlrev_b64 v[0:1], 2, v[1:2]
	v_mov_b32_e32 v2, s3
	v_add_co_u32_e32 v0, vcc, s2, v0
	v_addc_co_u32_e32 v1, vcc, v2, v1, vcc
	global_load_dword v2, v[3:4], off
	global_load_dword v13, v[3:4], off offset:128
	global_load_dword v14, v[3:4], off offset:256
	;; [unrolled: 1-line block ×7, first 2 shown]
	s_waitcnt vmcnt(7)
	global_store_dword v[5:6], v2, off
	s_waitcnt vmcnt(7)
	global_store_dword v[5:6], v13, off offset:1024
	s_waitcnt vmcnt(7)
	global_store_dword v[5:6], v14, off offset:2048
	;; [unrolled: 2-line block ×3, first 2 shown]
	s_waitcnt vmcnt(7)
	global_store_dword v[7:8], v16, off
	s_waitcnt vmcnt(7)
	global_store_dword v[9:10], v17, off
	;; [unrolled: 2-line block ×4, first 2 shown]
	s_endpgm
	.section	.rodata,"a",@progbits
	.p2align	6, 0x0
	.amdhsa_kernel _Z16warp_load_kernelILj256ELj8ELj32ELN6hipcub17WarpLoadAlgorithmE1EiEvPT3_S3_
		.amdhsa_group_segment_fixed_size 0
		.amdhsa_private_segment_fixed_size 0
		.amdhsa_kernarg_size 16
		.amdhsa_user_sgpr_count 6
		.amdhsa_user_sgpr_private_segment_buffer 1
		.amdhsa_user_sgpr_dispatch_ptr 0
		.amdhsa_user_sgpr_queue_ptr 0
		.amdhsa_user_sgpr_kernarg_segment_ptr 1
		.amdhsa_user_sgpr_dispatch_id 0
		.amdhsa_user_sgpr_flat_scratch_init 0
		.amdhsa_user_sgpr_private_segment_size 0
		.amdhsa_uses_dynamic_stack 0
		.amdhsa_system_sgpr_private_segment_wavefront_offset 0
		.amdhsa_system_sgpr_workgroup_id_x 1
		.amdhsa_system_sgpr_workgroup_id_y 0
		.amdhsa_system_sgpr_workgroup_id_z 0
		.amdhsa_system_sgpr_workgroup_info 0
		.amdhsa_system_vgpr_workitem_id 0
		.amdhsa_next_free_vgpr 20
		.amdhsa_next_free_sgpr 7
		.amdhsa_reserve_vcc 1
		.amdhsa_reserve_flat_scratch 0
		.amdhsa_float_round_mode_32 0
		.amdhsa_float_round_mode_16_64 0
		.amdhsa_float_denorm_mode_32 3
		.amdhsa_float_denorm_mode_16_64 3
		.amdhsa_dx10_clamp 1
		.amdhsa_ieee_mode 1
		.amdhsa_fp16_overflow 0
		.amdhsa_exception_fp_ieee_invalid_op 0
		.amdhsa_exception_fp_denorm_src 0
		.amdhsa_exception_fp_ieee_div_zero 0
		.amdhsa_exception_fp_ieee_overflow 0
		.amdhsa_exception_fp_ieee_underflow 0
		.amdhsa_exception_fp_ieee_inexact 0
		.amdhsa_exception_int_div_zero 0
	.end_amdhsa_kernel
	.section	.text._Z16warp_load_kernelILj256ELj8ELj32ELN6hipcub17WarpLoadAlgorithmE1EiEvPT3_S3_,"axG",@progbits,_Z16warp_load_kernelILj256ELj8ELj32ELN6hipcub17WarpLoadAlgorithmE1EiEvPT3_S3_,comdat
.Lfunc_end5:
	.size	_Z16warp_load_kernelILj256ELj8ELj32ELN6hipcub17WarpLoadAlgorithmE1EiEvPT3_S3_, .Lfunc_end5-_Z16warp_load_kernelILj256ELj8ELj32ELN6hipcub17WarpLoadAlgorithmE1EiEvPT3_S3_
                                        ; -- End function
	.set _Z16warp_load_kernelILj256ELj8ELj32ELN6hipcub17WarpLoadAlgorithmE1EiEvPT3_S3_.num_vgpr, 20
	.set _Z16warp_load_kernelILj256ELj8ELj32ELN6hipcub17WarpLoadAlgorithmE1EiEvPT3_S3_.num_agpr, 0
	.set _Z16warp_load_kernelILj256ELj8ELj32ELN6hipcub17WarpLoadAlgorithmE1EiEvPT3_S3_.numbered_sgpr, 7
	.set _Z16warp_load_kernelILj256ELj8ELj32ELN6hipcub17WarpLoadAlgorithmE1EiEvPT3_S3_.num_named_barrier, 0
	.set _Z16warp_load_kernelILj256ELj8ELj32ELN6hipcub17WarpLoadAlgorithmE1EiEvPT3_S3_.private_seg_size, 0
	.set _Z16warp_load_kernelILj256ELj8ELj32ELN6hipcub17WarpLoadAlgorithmE1EiEvPT3_S3_.uses_vcc, 1
	.set _Z16warp_load_kernelILj256ELj8ELj32ELN6hipcub17WarpLoadAlgorithmE1EiEvPT3_S3_.uses_flat_scratch, 0
	.set _Z16warp_load_kernelILj256ELj8ELj32ELN6hipcub17WarpLoadAlgorithmE1EiEvPT3_S3_.has_dyn_sized_stack, 0
	.set _Z16warp_load_kernelILj256ELj8ELj32ELN6hipcub17WarpLoadAlgorithmE1EiEvPT3_S3_.has_recursion, 0
	.set _Z16warp_load_kernelILj256ELj8ELj32ELN6hipcub17WarpLoadAlgorithmE1EiEvPT3_S3_.has_indirect_call, 0
	.section	.AMDGPU.csdata,"",@progbits
; Kernel info:
; codeLenInByte = 388
; TotalNumSgprs: 11
; NumVgprs: 20
; ScratchSize: 0
; MemoryBound: 0
; FloatMode: 240
; IeeeMode: 1
; LDSByteSize: 0 bytes/workgroup (compile time only)
; SGPRBlocks: 1
; VGPRBlocks: 4
; NumSGPRsForWavesPerEU: 11
; NumVGPRsForWavesPerEU: 20
; Occupancy: 10
; WaveLimiterHint : 1
; COMPUTE_PGM_RSRC2:SCRATCH_EN: 0
; COMPUTE_PGM_RSRC2:USER_SGPR: 6
; COMPUTE_PGM_RSRC2:TRAP_HANDLER: 0
; COMPUTE_PGM_RSRC2:TGID_X_EN: 1
; COMPUTE_PGM_RSRC2:TGID_Y_EN: 0
; COMPUTE_PGM_RSRC2:TGID_Z_EN: 0
; COMPUTE_PGM_RSRC2:TIDIG_COMP_CNT: 0
	.section	.text._Z16warp_load_kernelILj256ELj8ELj32ELN6hipcub17WarpLoadAlgorithmE2EiEvPT3_S3_,"axG",@progbits,_Z16warp_load_kernelILj256ELj8ELj32ELN6hipcub17WarpLoadAlgorithmE2EiEvPT3_S3_,comdat
	.protected	_Z16warp_load_kernelILj256ELj8ELj32ELN6hipcub17WarpLoadAlgorithmE2EiEvPT3_S3_ ; -- Begin function _Z16warp_load_kernelILj256ELj8ELj32ELN6hipcub17WarpLoadAlgorithmE2EiEvPT3_S3_
	.globl	_Z16warp_load_kernelILj256ELj8ELj32ELN6hipcub17WarpLoadAlgorithmE2EiEvPT3_S3_
	.p2align	8
	.type	_Z16warp_load_kernelILj256ELj8ELj32ELN6hipcub17WarpLoadAlgorithmE2EiEvPT3_S3_,@function
_Z16warp_load_kernelILj256ELj8ELj32ELN6hipcub17WarpLoadAlgorithmE2EiEvPT3_S3_: ; @_Z16warp_load_kernelILj256ELj8ELj32ELN6hipcub17WarpLoadAlgorithmE2EiEvPT3_S3_
; %bb.0:
	v_mbcnt_lo_u32_b32 v1, -1, 0
	s_load_dwordx4 s[0:3], s[4:5], 0x0
	v_mbcnt_hi_u32_b32 v3, -1, v1
	v_lshlrev_b32_e32 v1, 3, v0
	s_lshl_b32 s4, s6, 11
	v_and_b32_e32 v1, 0x700, v1
	v_or_b32_e32 v5, s4, v1
	v_mov_b32_e32 v6, 0
	v_lshlrev_b64 v[1:2], 2, v[5:6]
	s_waitcnt lgkmcnt(0)
	v_mov_b32_e32 v4, s1
	v_add_co_u32_e32 v1, vcc, s0, v1
	v_lshlrev_b32_e32 v3, 5, v3
	v_addc_co_u32_e32 v2, vcc, v4, v2, vcc
	v_and_b32_e32 v3, 0x3e0, v3
	v_or_b32_e32 v5, s4, v0
	v_add_co_u32_e32 v7, vcc, v1, v3
	v_lshlrev_b64 v[9:10], 2, v[5:6]
	v_addc_co_u32_e32 v8, vcc, 0, v2, vcc
	v_or_b32_e32 v11, 0x400, v5
	v_mov_b32_e32 v12, v6
	v_mov_b32_e32 v0, s3
	v_add_co_u32_e32 v9, vcc, s2, v9
	v_lshlrev_b64 v[11:12], 2, v[11:12]
	v_addc_co_u32_e32 v10, vcc, v0, v10, vcc
	v_or_b32_e32 v13, 0x500, v5
	v_mov_b32_e32 v14, v6
	v_add_co_u32_e32 v11, vcc, s2, v11
	v_lshlrev_b64 v[13:14], 2, v[13:14]
	v_addc_co_u32_e32 v12, vcc, v0, v12, vcc
	v_or_b32_e32 v15, 0x600, v5
	v_mov_b32_e32 v16, v6
	v_add_co_u32_e32 v13, vcc, s2, v13
	v_lshlrev_b64 v[15:16], 2, v[15:16]
	global_load_dwordx4 v[1:4], v[7:8], off
	v_addc_co_u32_e32 v14, vcc, v0, v14, vcc
	v_or_b32_e32 v5, 0x700, v5
	v_add_co_u32_e32 v15, vcc, s2, v15
	v_lshlrev_b64 v[5:6], 2, v[5:6]
	v_addc_co_u32_e32 v16, vcc, v0, v16, vcc
	v_add_co_u32_e32 v17, vcc, s2, v5
	v_addc_co_u32_e32 v18, vcc, v0, v6, vcc
	global_load_dwordx4 v[5:8], v[7:8], off offset:16
	s_waitcnt vmcnt(1)
	global_store_dword v[9:10], v1, off
	global_store_dword v[9:10], v2, off offset:1024
	global_store_dword v[9:10], v3, off offset:2048
	;; [unrolled: 1-line block ×3, first 2 shown]
	s_waitcnt vmcnt(4)
	global_store_dword v[11:12], v5, off
	global_store_dword v[13:14], v6, off
	global_store_dword v[15:16], v7, off
	global_store_dword v[17:18], v8, off
	s_endpgm
	.section	.rodata,"a",@progbits
	.p2align	6, 0x0
	.amdhsa_kernel _Z16warp_load_kernelILj256ELj8ELj32ELN6hipcub17WarpLoadAlgorithmE2EiEvPT3_S3_
		.amdhsa_group_segment_fixed_size 0
		.amdhsa_private_segment_fixed_size 0
		.amdhsa_kernarg_size 16
		.amdhsa_user_sgpr_count 6
		.amdhsa_user_sgpr_private_segment_buffer 1
		.amdhsa_user_sgpr_dispatch_ptr 0
		.amdhsa_user_sgpr_queue_ptr 0
		.amdhsa_user_sgpr_kernarg_segment_ptr 1
		.amdhsa_user_sgpr_dispatch_id 0
		.amdhsa_user_sgpr_flat_scratch_init 0
		.amdhsa_user_sgpr_private_segment_size 0
		.amdhsa_uses_dynamic_stack 0
		.amdhsa_system_sgpr_private_segment_wavefront_offset 0
		.amdhsa_system_sgpr_workgroup_id_x 1
		.amdhsa_system_sgpr_workgroup_id_y 0
		.amdhsa_system_sgpr_workgroup_id_z 0
		.amdhsa_system_sgpr_workgroup_info 0
		.amdhsa_system_vgpr_workitem_id 0
		.amdhsa_next_free_vgpr 19
		.amdhsa_next_free_sgpr 7
		.amdhsa_reserve_vcc 1
		.amdhsa_reserve_flat_scratch 0
		.amdhsa_float_round_mode_32 0
		.amdhsa_float_round_mode_16_64 0
		.amdhsa_float_denorm_mode_32 3
		.amdhsa_float_denorm_mode_16_64 3
		.amdhsa_dx10_clamp 1
		.amdhsa_ieee_mode 1
		.amdhsa_fp16_overflow 0
		.amdhsa_exception_fp_ieee_invalid_op 0
		.amdhsa_exception_fp_denorm_src 0
		.amdhsa_exception_fp_ieee_div_zero 0
		.amdhsa_exception_fp_ieee_overflow 0
		.amdhsa_exception_fp_ieee_underflow 0
		.amdhsa_exception_fp_ieee_inexact 0
		.amdhsa_exception_int_div_zero 0
	.end_amdhsa_kernel
	.section	.text._Z16warp_load_kernelILj256ELj8ELj32ELN6hipcub17WarpLoadAlgorithmE2EiEvPT3_S3_,"axG",@progbits,_Z16warp_load_kernelILj256ELj8ELj32ELN6hipcub17WarpLoadAlgorithmE2EiEvPT3_S3_,comdat
.Lfunc_end6:
	.size	_Z16warp_load_kernelILj256ELj8ELj32ELN6hipcub17WarpLoadAlgorithmE2EiEvPT3_S3_, .Lfunc_end6-_Z16warp_load_kernelILj256ELj8ELj32ELN6hipcub17WarpLoadAlgorithmE2EiEvPT3_S3_
                                        ; -- End function
	.set _Z16warp_load_kernelILj256ELj8ELj32ELN6hipcub17WarpLoadAlgorithmE2EiEvPT3_S3_.num_vgpr, 19
	.set _Z16warp_load_kernelILj256ELj8ELj32ELN6hipcub17WarpLoadAlgorithmE2EiEvPT3_S3_.num_agpr, 0
	.set _Z16warp_load_kernelILj256ELj8ELj32ELN6hipcub17WarpLoadAlgorithmE2EiEvPT3_S3_.numbered_sgpr, 7
	.set _Z16warp_load_kernelILj256ELj8ELj32ELN6hipcub17WarpLoadAlgorithmE2EiEvPT3_S3_.num_named_barrier, 0
	.set _Z16warp_load_kernelILj256ELj8ELj32ELN6hipcub17WarpLoadAlgorithmE2EiEvPT3_S3_.private_seg_size, 0
	.set _Z16warp_load_kernelILj256ELj8ELj32ELN6hipcub17WarpLoadAlgorithmE2EiEvPT3_S3_.uses_vcc, 1
	.set _Z16warp_load_kernelILj256ELj8ELj32ELN6hipcub17WarpLoadAlgorithmE2EiEvPT3_S3_.uses_flat_scratch, 0
	.set _Z16warp_load_kernelILj256ELj8ELj32ELN6hipcub17WarpLoadAlgorithmE2EiEvPT3_S3_.has_dyn_sized_stack, 0
	.set _Z16warp_load_kernelILj256ELj8ELj32ELN6hipcub17WarpLoadAlgorithmE2EiEvPT3_S3_.has_recursion, 0
	.set _Z16warp_load_kernelILj256ELj8ELj32ELN6hipcub17WarpLoadAlgorithmE2EiEvPT3_S3_.has_indirect_call, 0
	.section	.AMDGPU.csdata,"",@progbits
; Kernel info:
; codeLenInByte = 316
; TotalNumSgprs: 11
; NumVgprs: 19
; ScratchSize: 0
; MemoryBound: 0
; FloatMode: 240
; IeeeMode: 1
; LDSByteSize: 0 bytes/workgroup (compile time only)
; SGPRBlocks: 1
; VGPRBlocks: 4
; NumSGPRsForWavesPerEU: 11
; NumVGPRsForWavesPerEU: 19
; Occupancy: 10
; WaveLimiterHint : 1
; COMPUTE_PGM_RSRC2:SCRATCH_EN: 0
; COMPUTE_PGM_RSRC2:USER_SGPR: 6
; COMPUTE_PGM_RSRC2:TRAP_HANDLER: 0
; COMPUTE_PGM_RSRC2:TGID_X_EN: 1
; COMPUTE_PGM_RSRC2:TGID_Y_EN: 0
; COMPUTE_PGM_RSRC2:TGID_Z_EN: 0
; COMPUTE_PGM_RSRC2:TIDIG_COMP_CNT: 0
	.section	.text._Z16warp_load_kernelILj256ELj8ELj32ELN6hipcub17WarpLoadAlgorithmE3EiEvPT3_S3_,"axG",@progbits,_Z16warp_load_kernelILj256ELj8ELj32ELN6hipcub17WarpLoadAlgorithmE3EiEvPT3_S3_,comdat
	.protected	_Z16warp_load_kernelILj256ELj8ELj32ELN6hipcub17WarpLoadAlgorithmE3EiEvPT3_S3_ ; -- Begin function _Z16warp_load_kernelILj256ELj8ELj32ELN6hipcub17WarpLoadAlgorithmE3EiEvPT3_S3_
	.globl	_Z16warp_load_kernelILj256ELj8ELj32ELN6hipcub17WarpLoadAlgorithmE3EiEvPT3_S3_
	.p2align	8
	.type	_Z16warp_load_kernelILj256ELj8ELj32ELN6hipcub17WarpLoadAlgorithmE3EiEvPT3_S3_,@function
_Z16warp_load_kernelILj256ELj8ELj32ELN6hipcub17WarpLoadAlgorithmE3EiEvPT3_S3_: ; @_Z16warp_load_kernelILj256ELj8ELj32ELN6hipcub17WarpLoadAlgorithmE3EiEvPT3_S3_
; %bb.0:
	s_load_dwordx4 s[0:3], s[4:5], 0x0
	v_mbcnt_lo_u32_b32 v1, -1, 0
	v_lshrrev_b32_e32 v5, 5, v0
	v_mbcnt_hi_u32_b32 v1, -1, v1
	s_lshl_b32 s4, s6, 11
	v_and_b32_e32 v7, 31, v1
	v_lshl_or_b32 v1, v5, 8, s4
	v_mov_b32_e32 v2, 0
	v_lshlrev_b64 v[3:4], 2, v[1:2]
	s_waitcnt lgkmcnt(0)
	v_mov_b32_e32 v1, s1
	v_add_co_u32_e32 v3, vcc, s0, v3
	v_addc_co_u32_e32 v1, vcc, v1, v4, vcc
	v_lshlrev_b32_e32 v9, 2, v7
	v_add_co_u32_e32 v3, vcc, v3, v9
	v_addc_co_u32_e32 v4, vcc, 0, v1, vcc
	global_load_dword v19, v[3:4], off
	global_load_dword v20, v[3:4], off offset:128
	global_load_dword v21, v[3:4], off offset:256
	;; [unrolled: 1-line block ×7, first 2 shown]
	v_lshlrev_b32_e32 v3, 10, v5
	v_or_b32_e32 v1, s4, v0
	v_or_b32_e32 v0, v3, v9
	v_lshlrev_b64 v[9:10], 2, v[1:2]
	v_mov_b32_e32 v4, v2
	v_lshl_or_b32 v27, v7, 5, v3
	v_or_b32_e32 v3, 0x400, v1
	v_or_b32_e32 v5, 0x500, v1
	;; [unrolled: 1-line block ×4, first 2 shown]
	v_lshlrev_b64 v[3:4], 2, v[3:4]
	v_lshlrev_b64 v[11:12], 2, v[1:2]
	v_mov_b32_e32 v1, s3
	v_add_co_u32_e32 v9, vcc, s2, v9
	v_mov_b32_e32 v6, v2
	v_addc_co_u32_e32 v10, vcc, v1, v10, vcc
	v_mov_b32_e32 v8, v2
	v_lshlrev_b64 v[5:6], 2, v[5:6]
	v_mov_b32_e32 v2, s3
	v_add_co_u32_e32 v13, vcc, s2, v3
	v_addc_co_u32_e32 v14, vcc, v2, v4, vcc
	v_lshlrev_b64 v[7:8], 2, v[7:8]
	v_mov_b32_e32 v16, s3
	v_add_co_u32_e32 v15, vcc, s2, v5
	v_addc_co_u32_e32 v16, vcc, v16, v6, vcc
	v_mov_b32_e32 v18, s3
	v_add_co_u32_e32 v17, vcc, s2, v7
	v_addc_co_u32_e32 v18, vcc, v18, v8, vcc
	;; [unrolled: 3-line block ×3, first 2 shown]
	s_waitcnt vmcnt(6)
	ds_write2_b32 v0, v19, v20 offset1:32
	s_waitcnt vmcnt(4)
	ds_write2_b32 v0, v21, v22 offset0:64 offset1:96
	s_waitcnt vmcnt(2)
	ds_write2_b32 v0, v23, v24 offset0:128 offset1:160
	;; [unrolled: 2-line block ×3, first 2 shown]
	; wave barrier
	ds_read_b128 v[0:3], v27
	ds_read_b128 v[4:7], v27 offset:16
	s_waitcnt lgkmcnt(1)
	global_store_dword v[9:10], v0, off
	global_store_dword v[9:10], v1, off offset:1024
	global_store_dword v[9:10], v2, off offset:2048
	;; [unrolled: 1-line block ×3, first 2 shown]
	s_waitcnt lgkmcnt(0)
	global_store_dword v[13:14], v4, off
	global_store_dword v[15:16], v5, off
	;; [unrolled: 1-line block ×4, first 2 shown]
	s_endpgm
	.section	.rodata,"a",@progbits
	.p2align	6, 0x0
	.amdhsa_kernel _Z16warp_load_kernelILj256ELj8ELj32ELN6hipcub17WarpLoadAlgorithmE3EiEvPT3_S3_
		.amdhsa_group_segment_fixed_size 8192
		.amdhsa_private_segment_fixed_size 0
		.amdhsa_kernarg_size 16
		.amdhsa_user_sgpr_count 6
		.amdhsa_user_sgpr_private_segment_buffer 1
		.amdhsa_user_sgpr_dispatch_ptr 0
		.amdhsa_user_sgpr_queue_ptr 0
		.amdhsa_user_sgpr_kernarg_segment_ptr 1
		.amdhsa_user_sgpr_dispatch_id 0
		.amdhsa_user_sgpr_flat_scratch_init 0
		.amdhsa_user_sgpr_private_segment_size 0
		.amdhsa_uses_dynamic_stack 0
		.amdhsa_system_sgpr_private_segment_wavefront_offset 0
		.amdhsa_system_sgpr_workgroup_id_x 1
		.amdhsa_system_sgpr_workgroup_id_y 0
		.amdhsa_system_sgpr_workgroup_id_z 0
		.amdhsa_system_sgpr_workgroup_info 0
		.amdhsa_system_vgpr_workitem_id 0
		.amdhsa_next_free_vgpr 29
		.amdhsa_next_free_sgpr 61
		.amdhsa_reserve_vcc 1
		.amdhsa_reserve_flat_scratch 0
		.amdhsa_float_round_mode_32 0
		.amdhsa_float_round_mode_16_64 0
		.amdhsa_float_denorm_mode_32 3
		.amdhsa_float_denorm_mode_16_64 3
		.amdhsa_dx10_clamp 1
		.amdhsa_ieee_mode 1
		.amdhsa_fp16_overflow 0
		.amdhsa_exception_fp_ieee_invalid_op 0
		.amdhsa_exception_fp_denorm_src 0
		.amdhsa_exception_fp_ieee_div_zero 0
		.amdhsa_exception_fp_ieee_overflow 0
		.amdhsa_exception_fp_ieee_underflow 0
		.amdhsa_exception_fp_ieee_inexact 0
		.amdhsa_exception_int_div_zero 0
	.end_amdhsa_kernel
	.section	.text._Z16warp_load_kernelILj256ELj8ELj32ELN6hipcub17WarpLoadAlgorithmE3EiEvPT3_S3_,"axG",@progbits,_Z16warp_load_kernelILj256ELj8ELj32ELN6hipcub17WarpLoadAlgorithmE3EiEvPT3_S3_,comdat
.Lfunc_end7:
	.size	_Z16warp_load_kernelILj256ELj8ELj32ELN6hipcub17WarpLoadAlgorithmE3EiEvPT3_S3_, .Lfunc_end7-_Z16warp_load_kernelILj256ELj8ELj32ELN6hipcub17WarpLoadAlgorithmE3EiEvPT3_S3_
                                        ; -- End function
	.set _Z16warp_load_kernelILj256ELj8ELj32ELN6hipcub17WarpLoadAlgorithmE3EiEvPT3_S3_.num_vgpr, 29
	.set _Z16warp_load_kernelILj256ELj8ELj32ELN6hipcub17WarpLoadAlgorithmE3EiEvPT3_S3_.num_agpr, 0
	.set _Z16warp_load_kernelILj256ELj8ELj32ELN6hipcub17WarpLoadAlgorithmE3EiEvPT3_S3_.numbered_sgpr, 7
	.set _Z16warp_load_kernelILj256ELj8ELj32ELN6hipcub17WarpLoadAlgorithmE3EiEvPT3_S3_.num_named_barrier, 0
	.set _Z16warp_load_kernelILj256ELj8ELj32ELN6hipcub17WarpLoadAlgorithmE3EiEvPT3_S3_.private_seg_size, 0
	.set _Z16warp_load_kernelILj256ELj8ELj32ELN6hipcub17WarpLoadAlgorithmE3EiEvPT3_S3_.uses_vcc, 1
	.set _Z16warp_load_kernelILj256ELj8ELj32ELN6hipcub17WarpLoadAlgorithmE3EiEvPT3_S3_.uses_flat_scratch, 0
	.set _Z16warp_load_kernelILj256ELj8ELj32ELN6hipcub17WarpLoadAlgorithmE3EiEvPT3_S3_.has_dyn_sized_stack, 0
	.set _Z16warp_load_kernelILj256ELj8ELj32ELN6hipcub17WarpLoadAlgorithmE3EiEvPT3_S3_.has_recursion, 0
	.set _Z16warp_load_kernelILj256ELj8ELj32ELN6hipcub17WarpLoadAlgorithmE3EiEvPT3_S3_.has_indirect_call, 0
	.section	.AMDGPU.csdata,"",@progbits
; Kernel info:
; codeLenInByte = 452
; TotalNumSgprs: 11
; NumVgprs: 29
; ScratchSize: 0
; MemoryBound: 0
; FloatMode: 240
; IeeeMode: 1
; LDSByteSize: 8192 bytes/workgroup (compile time only)
; SGPRBlocks: 8
; VGPRBlocks: 7
; NumSGPRsForWavesPerEU: 65
; NumVGPRsForWavesPerEU: 29
; Occupancy: 8
; WaveLimiterHint : 1
; COMPUTE_PGM_RSRC2:SCRATCH_EN: 0
; COMPUTE_PGM_RSRC2:USER_SGPR: 6
; COMPUTE_PGM_RSRC2:TRAP_HANDLER: 0
; COMPUTE_PGM_RSRC2:TGID_X_EN: 1
; COMPUTE_PGM_RSRC2:TGID_Y_EN: 0
; COMPUTE_PGM_RSRC2:TGID_Z_EN: 0
; COMPUTE_PGM_RSRC2:TIDIG_COMP_CNT: 0
	.section	.text._Z16warp_load_kernelILj256ELj16ELj32ELN6hipcub17WarpLoadAlgorithmE0EiEvPT3_S3_,"axG",@progbits,_Z16warp_load_kernelILj256ELj16ELj32ELN6hipcub17WarpLoadAlgorithmE0EiEvPT3_S3_,comdat
	.protected	_Z16warp_load_kernelILj256ELj16ELj32ELN6hipcub17WarpLoadAlgorithmE0EiEvPT3_S3_ ; -- Begin function _Z16warp_load_kernelILj256ELj16ELj32ELN6hipcub17WarpLoadAlgorithmE0EiEvPT3_S3_
	.globl	_Z16warp_load_kernelILj256ELj16ELj32ELN6hipcub17WarpLoadAlgorithmE0EiEvPT3_S3_
	.p2align	8
	.type	_Z16warp_load_kernelILj256ELj16ELj32ELN6hipcub17WarpLoadAlgorithmE0EiEvPT3_S3_,@function
_Z16warp_load_kernelILj256ELj16ELj32ELN6hipcub17WarpLoadAlgorithmE0EiEvPT3_S3_: ; @_Z16warp_load_kernelILj256ELj16ELj32ELN6hipcub17WarpLoadAlgorithmE0EiEvPT3_S3_
; %bb.0:
	v_mbcnt_lo_u32_b32 v1, -1, 0
	s_load_dwordx4 s[0:3], s[4:5], 0x0
	v_mbcnt_hi_u32_b32 v3, -1, v1
	v_lshlrev_b32_e32 v1, 4, v0
	s_lshl_b32 s4, s6, 12
	v_and_b32_e32 v1, 0xe00, v1
	v_or_b32_e32 v17, s4, v1
	v_mov_b32_e32 v18, 0
	v_lshlrev_b64 v[1:2], 2, v[17:18]
	s_waitcnt lgkmcnt(0)
	v_mov_b32_e32 v4, s1
	v_add_co_u32_e32 v1, vcc, s0, v1
	v_lshlrev_b32_e32 v3, 6, v3
	v_addc_co_u32_e32 v2, vcc, v4, v2, vcc
	v_and_b32_e32 v3, 0x7c0, v3
	v_add_co_u32_e32 v19, vcc, v1, v3
	v_addc_co_u32_e32 v20, vcc, 0, v2, vcc
	global_load_dwordx4 v[1:4], v[19:20], off
	global_load_dwordx4 v[5:8], v[19:20], off offset:16
	v_or_b32_e32 v17, s4, v0
	v_lshlrev_b64 v[9:10], 2, v[17:18]
	v_mov_b32_e32 v0, s3
	v_add_co_u32_e32 v21, vcc, s2, v9
	v_addc_co_u32_e32 v22, vcc, v0, v10, vcc
	global_load_dwordx4 v[9:12], v[19:20], off offset:32
	global_load_dwordx4 v[13:16], v[19:20], off offset:48
	v_or_b32_e32 v0, 0x400, v17
	v_mov_b32_e32 v20, v18
	v_or_b32_e32 v19, 0x600, v17
	v_lshlrev_b64 v[19:20], 2, v[19:20]
	s_waitcnt vmcnt(3)
	global_store_dword v[21:22], v1, off
	global_store_dword v[21:22], v2, off offset:1024
	global_store_dword v[21:22], v3, off offset:2048
	;; [unrolled: 1-line block ×3, first 2 shown]
	v_mov_b32_e32 v1, v18
	v_lshlrev_b64 v[0:1], 2, v[0:1]
	v_mov_b32_e32 v2, s3
	v_add_co_u32_e32 v0, vcc, s2, v0
	v_addc_co_u32_e32 v1, vcc, v2, v1, vcc
	v_mov_b32_e32 v3, v18
	v_or_b32_e32 v2, 0x500, v17
	v_lshlrev_b64 v[2:3], 2, v[2:3]
	v_mov_b32_e32 v4, s3
	v_add_co_u32_e32 v2, vcc, s2, v2
	v_addc_co_u32_e32 v3, vcc, v4, v3, vcc
	v_mov_b32_e32 v22, v18
	v_or_b32_e32 v21, 0x700, v17
	v_add_co_u32_e32 v19, vcc, s2, v19
	v_lshlrev_b64 v[21:22], 2, v[21:22]
	v_addc_co_u32_e32 v20, vcc, v4, v20, vcc
	s_waitcnt vmcnt(6)
	global_store_dword v[0:1], v5, off
	global_store_dword v[2:3], v6, off
	v_mov_b32_e32 v1, v18
	v_or_b32_e32 v0, 0x800, v17
	v_add_co_u32_e32 v21, vcc, s2, v21
	v_lshlrev_b64 v[0:1], 2, v[0:1]
	v_addc_co_u32_e32 v22, vcc, v4, v22, vcc
	v_mov_b32_e32 v3, v18
	v_or_b32_e32 v2, 0x900, v17
	v_lshlrev_b64 v[2:3], 2, v[2:3]
	v_add_co_u32_e32 v0, vcc, s2, v0
	v_addc_co_u32_e32 v1, vcc, v4, v1, vcc
	v_mov_b32_e32 v5, s3
	s_waitcnt vmcnt(7)
	global_store_dword v[0:1], v9, off
	v_add_co_u32_e32 v0, vcc, s2, v2
	v_addc_co_u32_e32 v1, vcc, v5, v3, vcc
	global_store_dword v[0:1], v10, off
	v_or_b32_e32 v0, 0xa00, v17
	v_mov_b32_e32 v1, v18
	v_lshlrev_b64 v[0:1], 2, v[0:1]
	v_mov_b32_e32 v2, s3
	v_add_co_u32_e32 v0, vcc, s2, v0
	v_addc_co_u32_e32 v1, vcc, v2, v1, vcc
	global_store_dword v[0:1], v11, off
	v_or_b32_e32 v0, 0xb00, v17
	v_mov_b32_e32 v1, v18
	v_lshlrev_b64 v[0:1], 2, v[0:1]
	global_store_dword v[19:20], v7, off
	v_add_co_u32_e32 v0, vcc, s2, v0
	v_addc_co_u32_e32 v1, vcc, v2, v1, vcc
	global_store_dword v[0:1], v12, off
	v_or_b32_e32 v0, 0xc00, v17
	v_mov_b32_e32 v1, v18
	v_lshlrev_b64 v[0:1], 2, v[0:1]
	global_store_dword v[21:22], v8, off
	v_add_co_u32_e32 v0, vcc, s2, v0
	v_addc_co_u32_e32 v1, vcc, v2, v1, vcc
	s_waitcnt vmcnt(12)
	global_store_dword v[0:1], v13, off
	v_or_b32_e32 v0, 0xd00, v17
	v_mov_b32_e32 v1, v18
	v_lshlrev_b64 v[0:1], 2, v[0:1]
	v_add_co_u32_e32 v0, vcc, s2, v0
	v_addc_co_u32_e32 v1, vcc, v2, v1, vcc
	global_store_dword v[0:1], v14, off
	v_or_b32_e32 v0, 0xe00, v17
	v_mov_b32_e32 v1, v18
	v_lshlrev_b64 v[0:1], 2, v[0:1]
	v_or_b32_e32 v17, 0xf00, v17
	v_add_co_u32_e32 v0, vcc, s2, v0
	v_addc_co_u32_e32 v1, vcc, v2, v1, vcc
	global_store_dword v[0:1], v15, off
	v_lshlrev_b64 v[0:1], 2, v[17:18]
	v_add_co_u32_e32 v0, vcc, s2, v0
	v_addc_co_u32_e32 v1, vcc, v2, v1, vcc
	global_store_dword v[0:1], v16, off
	s_endpgm
	.section	.rodata,"a",@progbits
	.p2align	6, 0x0
	.amdhsa_kernel _Z16warp_load_kernelILj256ELj16ELj32ELN6hipcub17WarpLoadAlgorithmE0EiEvPT3_S3_
		.amdhsa_group_segment_fixed_size 0
		.amdhsa_private_segment_fixed_size 0
		.amdhsa_kernarg_size 16
		.amdhsa_user_sgpr_count 6
		.amdhsa_user_sgpr_private_segment_buffer 1
		.amdhsa_user_sgpr_dispatch_ptr 0
		.amdhsa_user_sgpr_queue_ptr 0
		.amdhsa_user_sgpr_kernarg_segment_ptr 1
		.amdhsa_user_sgpr_dispatch_id 0
		.amdhsa_user_sgpr_flat_scratch_init 0
		.amdhsa_user_sgpr_private_segment_size 0
		.amdhsa_uses_dynamic_stack 0
		.amdhsa_system_sgpr_private_segment_wavefront_offset 0
		.amdhsa_system_sgpr_workgroup_id_x 1
		.amdhsa_system_sgpr_workgroup_id_y 0
		.amdhsa_system_sgpr_workgroup_id_z 0
		.amdhsa_system_sgpr_workgroup_info 0
		.amdhsa_system_vgpr_workitem_id 0
		.amdhsa_next_free_vgpr 23
		.amdhsa_next_free_sgpr 7
		.amdhsa_reserve_vcc 1
		.amdhsa_reserve_flat_scratch 0
		.amdhsa_float_round_mode_32 0
		.amdhsa_float_round_mode_16_64 0
		.amdhsa_float_denorm_mode_32 3
		.amdhsa_float_denorm_mode_16_64 3
		.amdhsa_dx10_clamp 1
		.amdhsa_ieee_mode 1
		.amdhsa_fp16_overflow 0
		.amdhsa_exception_fp_ieee_invalid_op 0
		.amdhsa_exception_fp_denorm_src 0
		.amdhsa_exception_fp_ieee_div_zero 0
		.amdhsa_exception_fp_ieee_overflow 0
		.amdhsa_exception_fp_ieee_underflow 0
		.amdhsa_exception_fp_ieee_inexact 0
		.amdhsa_exception_int_div_zero 0
	.end_amdhsa_kernel
	.section	.text._Z16warp_load_kernelILj256ELj16ELj32ELN6hipcub17WarpLoadAlgorithmE0EiEvPT3_S3_,"axG",@progbits,_Z16warp_load_kernelILj256ELj16ELj32ELN6hipcub17WarpLoadAlgorithmE0EiEvPT3_S3_,comdat
.Lfunc_end8:
	.size	_Z16warp_load_kernelILj256ELj16ELj32ELN6hipcub17WarpLoadAlgorithmE0EiEvPT3_S3_, .Lfunc_end8-_Z16warp_load_kernelILj256ELj16ELj32ELN6hipcub17WarpLoadAlgorithmE0EiEvPT3_S3_
                                        ; -- End function
	.set _Z16warp_load_kernelILj256ELj16ELj32ELN6hipcub17WarpLoadAlgorithmE0EiEvPT3_S3_.num_vgpr, 23
	.set _Z16warp_load_kernelILj256ELj16ELj32ELN6hipcub17WarpLoadAlgorithmE0EiEvPT3_S3_.num_agpr, 0
	.set _Z16warp_load_kernelILj256ELj16ELj32ELN6hipcub17WarpLoadAlgorithmE0EiEvPT3_S3_.numbered_sgpr, 7
	.set _Z16warp_load_kernelILj256ELj16ELj32ELN6hipcub17WarpLoadAlgorithmE0EiEvPT3_S3_.num_named_barrier, 0
	.set _Z16warp_load_kernelILj256ELj16ELj32ELN6hipcub17WarpLoadAlgorithmE0EiEvPT3_S3_.private_seg_size, 0
	.set _Z16warp_load_kernelILj256ELj16ELj32ELN6hipcub17WarpLoadAlgorithmE0EiEvPT3_S3_.uses_vcc, 1
	.set _Z16warp_load_kernelILj256ELj16ELj32ELN6hipcub17WarpLoadAlgorithmE0EiEvPT3_S3_.uses_flat_scratch, 0
	.set _Z16warp_load_kernelILj256ELj16ELj32ELN6hipcub17WarpLoadAlgorithmE0EiEvPT3_S3_.has_dyn_sized_stack, 0
	.set _Z16warp_load_kernelILj256ELj16ELj32ELN6hipcub17WarpLoadAlgorithmE0EiEvPT3_S3_.has_recursion, 0
	.set _Z16warp_load_kernelILj256ELj16ELj32ELN6hipcub17WarpLoadAlgorithmE0EiEvPT3_S3_.has_indirect_call, 0
	.section	.AMDGPU.csdata,"",@progbits
; Kernel info:
; codeLenInByte = 644
; TotalNumSgprs: 11
; NumVgprs: 23
; ScratchSize: 0
; MemoryBound: 0
; FloatMode: 240
; IeeeMode: 1
; LDSByteSize: 0 bytes/workgroup (compile time only)
; SGPRBlocks: 1
; VGPRBlocks: 5
; NumSGPRsForWavesPerEU: 11
; NumVGPRsForWavesPerEU: 23
; Occupancy: 10
; WaveLimiterHint : 1
; COMPUTE_PGM_RSRC2:SCRATCH_EN: 0
; COMPUTE_PGM_RSRC2:USER_SGPR: 6
; COMPUTE_PGM_RSRC2:TRAP_HANDLER: 0
; COMPUTE_PGM_RSRC2:TGID_X_EN: 1
; COMPUTE_PGM_RSRC2:TGID_Y_EN: 0
; COMPUTE_PGM_RSRC2:TGID_Z_EN: 0
; COMPUTE_PGM_RSRC2:TIDIG_COMP_CNT: 0
	.section	.text._Z16warp_load_kernelILj256ELj16ELj32ELN6hipcub17WarpLoadAlgorithmE1EiEvPT3_S3_,"axG",@progbits,_Z16warp_load_kernelILj256ELj16ELj32ELN6hipcub17WarpLoadAlgorithmE1EiEvPT3_S3_,comdat
	.protected	_Z16warp_load_kernelILj256ELj16ELj32ELN6hipcub17WarpLoadAlgorithmE1EiEvPT3_S3_ ; -- Begin function _Z16warp_load_kernelILj256ELj16ELj32ELN6hipcub17WarpLoadAlgorithmE1EiEvPT3_S3_
	.globl	_Z16warp_load_kernelILj256ELj16ELj32ELN6hipcub17WarpLoadAlgorithmE1EiEvPT3_S3_
	.p2align	8
	.type	_Z16warp_load_kernelILj256ELj16ELj32ELN6hipcub17WarpLoadAlgorithmE1EiEvPT3_S3_,@function
_Z16warp_load_kernelILj256ELj16ELj32ELN6hipcub17WarpLoadAlgorithmE1EiEvPT3_S3_: ; @_Z16warp_load_kernelILj256ELj16ELj32ELN6hipcub17WarpLoadAlgorithmE1EiEvPT3_S3_
; %bb.0:
	v_mbcnt_lo_u32_b32 v1, -1, 0
	v_mbcnt_hi_u32_b32 v1, -1, v1
	s_load_dwordx4 s[0:3], s[4:5], 0x0
	v_and_b32_e32 v5, 31, v1
	v_lshlrev_b32_e32 v1, 4, v0
	s_lshl_b32 s4, s6, 12
	v_and_b32_e32 v1, 0xe00, v1
	v_or_b32_e32 v1, s4, v1
	v_mov_b32_e32 v2, 0
	v_lshlrev_b64 v[3:4], 2, v[1:2]
	s_waitcnt lgkmcnt(0)
	v_mov_b32_e32 v1, s1
	v_add_co_u32_e32 v3, vcc, s0, v3
	v_addc_co_u32_e32 v1, vcc, v1, v4, vcc
	v_lshlrev_b32_e32 v4, 2, v5
	v_add_co_u32_e32 v3, vcc, v3, v4
	v_addc_co_u32_e32 v4, vcc, 0, v1, vcc
	v_or_b32_e32 v1, s4, v0
	v_lshlrev_b64 v[5:6], 2, v[1:2]
	v_mov_b32_e32 v0, s3
	v_add_co_u32_e32 v5, vcc, s2, v5
	v_addc_co_u32_e32 v6, vcc, v0, v6, vcc
	global_load_dword v0, v[3:4], off
	global_load_dword v15, v[3:4], off offset:128
	global_load_dword v16, v[3:4], off offset:256
	global_load_dword v17, v[3:4], off offset:384
	global_load_dword v18, v[3:4], off offset:512
	global_load_dword v19, v[3:4], off offset:640
	global_load_dword v20, v[3:4], off offset:768
	global_load_dword v21, v[3:4], off offset:896
	global_load_dword v22, v[3:4], off offset:1024
	global_load_dword v23, v[3:4], off offset:1152
	global_load_dword v24, v[3:4], off offset:1280
	v_or_b32_e32 v7, 0x400, v1
	v_mov_b32_e32 v8, v2
	v_lshlrev_b64 v[7:8], 2, v[7:8]
	v_mov_b32_e32 v9, s3
	v_add_co_u32_e32 v7, vcc, s2, v7
	v_addc_co_u32_e32 v8, vcc, v9, v8, vcc
	v_or_b32_e32 v9, 0x500, v1
	v_mov_b32_e32 v10, v2
	v_lshlrev_b64 v[9:10], 2, v[9:10]
	v_mov_b32_e32 v11, s3
	v_add_co_u32_e32 v9, vcc, s2, v9
	v_addc_co_u32_e32 v10, vcc, v11, v10, vcc
	;; [unrolled: 6-line block ×4, first 2 shown]
	global_load_dword v25, v[3:4], off offset:1408
	global_load_dword v26, v[3:4], off offset:1536
	;; [unrolled: 1-line block ×5, first 2 shown]
	v_mov_b32_e32 v4, v2
	v_or_b32_e32 v3, 0x800, v1
	v_lshlrev_b64 v[3:4], 2, v[3:4]
	s_waitcnt vmcnt(15)
	global_store_dword v[5:6], v0, off
	s_waitcnt vmcnt(15)
	global_store_dword v[5:6], v15, off offset:1024
	v_mov_b32_e32 v0, s3
	v_add_co_u32_e32 v3, vcc, s2, v3
	v_addc_co_u32_e32 v4, vcc, v0, v4, vcc
	s_waitcnt vmcnt(15)
	global_store_dword v[5:6], v16, off offset:2048
	s_waitcnt vmcnt(15)
	global_store_dword v[5:6], v17, off offset:3072
	s_waitcnt vmcnt(15)
	global_store_dword v[7:8], v18, off
	s_waitcnt vmcnt(15)
	global_store_dword v[9:10], v19, off
	;; [unrolled: 2-line block ×5, first 2 shown]
	v_or_b32_e32 v3, 0x900, v1
	v_mov_b32_e32 v4, v2
	v_lshlrev_b64 v[3:4], 2, v[3:4]
	v_add_co_u32_e32 v3, vcc, s2, v3
	v_addc_co_u32_e32 v4, vcc, v0, v4, vcc
	s_waitcnt vmcnt(15)
	global_store_dword v[3:4], v23, off
	v_or_b32_e32 v3, 0xa00, v1
	v_mov_b32_e32 v4, v2
	v_lshlrev_b64 v[3:4], 2, v[3:4]
	v_add_co_u32_e32 v3, vcc, s2, v3
	v_addc_co_u32_e32 v4, vcc, v0, v4, vcc
	s_waitcnt vmcnt(15)
	global_store_dword v[3:4], v24, off
	;; [unrolled: 7-line block ×5, first 2 shown]
	v_or_b32_e32 v3, 0xe00, v1
	v_mov_b32_e32 v4, v2
	v_lshlrev_b64 v[3:4], 2, v[3:4]
	v_or_b32_e32 v1, 0xf00, v1
	v_add_co_u32_e32 v3, vcc, s2, v3
	v_addc_co_u32_e32 v4, vcc, v0, v4, vcc
	v_lshlrev_b64 v[0:1], 2, v[1:2]
	v_mov_b32_e32 v2, s3
	v_add_co_u32_e32 v0, vcc, s2, v0
	v_addc_co_u32_e32 v1, vcc, v2, v1, vcc
	s_waitcnt vmcnt(15)
	global_store_dword v[3:4], v28, off
	s_waitcnt vmcnt(15)
	global_store_dword v[0:1], v29, off
	s_endpgm
	.section	.rodata,"a",@progbits
	.p2align	6, 0x0
	.amdhsa_kernel _Z16warp_load_kernelILj256ELj16ELj32ELN6hipcub17WarpLoadAlgorithmE1EiEvPT3_S3_
		.amdhsa_group_segment_fixed_size 0
		.amdhsa_private_segment_fixed_size 0
		.amdhsa_kernarg_size 16
		.amdhsa_user_sgpr_count 6
		.amdhsa_user_sgpr_private_segment_buffer 1
		.amdhsa_user_sgpr_dispatch_ptr 0
		.amdhsa_user_sgpr_queue_ptr 0
		.amdhsa_user_sgpr_kernarg_segment_ptr 1
		.amdhsa_user_sgpr_dispatch_id 0
		.amdhsa_user_sgpr_flat_scratch_init 0
		.amdhsa_user_sgpr_private_segment_size 0
		.amdhsa_uses_dynamic_stack 0
		.amdhsa_system_sgpr_private_segment_wavefront_offset 0
		.amdhsa_system_sgpr_workgroup_id_x 1
		.amdhsa_system_sgpr_workgroup_id_y 0
		.amdhsa_system_sgpr_workgroup_id_z 0
		.amdhsa_system_sgpr_workgroup_info 0
		.amdhsa_system_vgpr_workitem_id 0
		.amdhsa_next_free_vgpr 30
		.amdhsa_next_free_sgpr 7
		.amdhsa_reserve_vcc 1
		.amdhsa_reserve_flat_scratch 0
		.amdhsa_float_round_mode_32 0
		.amdhsa_float_round_mode_16_64 0
		.amdhsa_float_denorm_mode_32 3
		.amdhsa_float_denorm_mode_16_64 3
		.amdhsa_dx10_clamp 1
		.amdhsa_ieee_mode 1
		.amdhsa_fp16_overflow 0
		.amdhsa_exception_fp_ieee_invalid_op 0
		.amdhsa_exception_fp_denorm_src 0
		.amdhsa_exception_fp_ieee_div_zero 0
		.amdhsa_exception_fp_ieee_overflow 0
		.amdhsa_exception_fp_ieee_underflow 0
		.amdhsa_exception_fp_ieee_inexact 0
		.amdhsa_exception_int_div_zero 0
	.end_amdhsa_kernel
	.section	.text._Z16warp_load_kernelILj256ELj16ELj32ELN6hipcub17WarpLoadAlgorithmE1EiEvPT3_S3_,"axG",@progbits,_Z16warp_load_kernelILj256ELj16ELj32ELN6hipcub17WarpLoadAlgorithmE1EiEvPT3_S3_,comdat
.Lfunc_end9:
	.size	_Z16warp_load_kernelILj256ELj16ELj32ELN6hipcub17WarpLoadAlgorithmE1EiEvPT3_S3_, .Lfunc_end9-_Z16warp_load_kernelILj256ELj16ELj32ELN6hipcub17WarpLoadAlgorithmE1EiEvPT3_S3_
                                        ; -- End function
	.set _Z16warp_load_kernelILj256ELj16ELj32ELN6hipcub17WarpLoadAlgorithmE1EiEvPT3_S3_.num_vgpr, 30
	.set _Z16warp_load_kernelILj256ELj16ELj32ELN6hipcub17WarpLoadAlgorithmE1EiEvPT3_S3_.num_agpr, 0
	.set _Z16warp_load_kernelILj256ELj16ELj32ELN6hipcub17WarpLoadAlgorithmE1EiEvPT3_S3_.numbered_sgpr, 7
	.set _Z16warp_load_kernelILj256ELj16ELj32ELN6hipcub17WarpLoadAlgorithmE1EiEvPT3_S3_.num_named_barrier, 0
	.set _Z16warp_load_kernelILj256ELj16ELj32ELN6hipcub17WarpLoadAlgorithmE1EiEvPT3_S3_.private_seg_size, 0
	.set _Z16warp_load_kernelILj256ELj16ELj32ELN6hipcub17WarpLoadAlgorithmE1EiEvPT3_S3_.uses_vcc, 1
	.set _Z16warp_load_kernelILj256ELj16ELj32ELN6hipcub17WarpLoadAlgorithmE1EiEvPT3_S3_.uses_flat_scratch, 0
	.set _Z16warp_load_kernelILj256ELj16ELj32ELN6hipcub17WarpLoadAlgorithmE1EiEvPT3_S3_.has_dyn_sized_stack, 0
	.set _Z16warp_load_kernelILj256ELj16ELj32ELN6hipcub17WarpLoadAlgorithmE1EiEvPT3_S3_.has_recursion, 0
	.set _Z16warp_load_kernelILj256ELj16ELj32ELN6hipcub17WarpLoadAlgorithmE1EiEvPT3_S3_.has_indirect_call, 0
	.section	.AMDGPU.csdata,"",@progbits
; Kernel info:
; codeLenInByte = 792
; TotalNumSgprs: 11
; NumVgprs: 30
; ScratchSize: 0
; MemoryBound: 0
; FloatMode: 240
; IeeeMode: 1
; LDSByteSize: 0 bytes/workgroup (compile time only)
; SGPRBlocks: 1
; VGPRBlocks: 7
; NumSGPRsForWavesPerEU: 11
; NumVGPRsForWavesPerEU: 30
; Occupancy: 8
; WaveLimiterHint : 1
; COMPUTE_PGM_RSRC2:SCRATCH_EN: 0
; COMPUTE_PGM_RSRC2:USER_SGPR: 6
; COMPUTE_PGM_RSRC2:TRAP_HANDLER: 0
; COMPUTE_PGM_RSRC2:TGID_X_EN: 1
; COMPUTE_PGM_RSRC2:TGID_Y_EN: 0
; COMPUTE_PGM_RSRC2:TGID_Z_EN: 0
; COMPUTE_PGM_RSRC2:TIDIG_COMP_CNT: 0
	.section	.text._Z16warp_load_kernelILj256ELj16ELj32ELN6hipcub17WarpLoadAlgorithmE2EiEvPT3_S3_,"axG",@progbits,_Z16warp_load_kernelILj256ELj16ELj32ELN6hipcub17WarpLoadAlgorithmE2EiEvPT3_S3_,comdat
	.protected	_Z16warp_load_kernelILj256ELj16ELj32ELN6hipcub17WarpLoadAlgorithmE2EiEvPT3_S3_ ; -- Begin function _Z16warp_load_kernelILj256ELj16ELj32ELN6hipcub17WarpLoadAlgorithmE2EiEvPT3_S3_
	.globl	_Z16warp_load_kernelILj256ELj16ELj32ELN6hipcub17WarpLoadAlgorithmE2EiEvPT3_S3_
	.p2align	8
	.type	_Z16warp_load_kernelILj256ELj16ELj32ELN6hipcub17WarpLoadAlgorithmE2EiEvPT3_S3_,@function
_Z16warp_load_kernelILj256ELj16ELj32ELN6hipcub17WarpLoadAlgorithmE2EiEvPT3_S3_: ; @_Z16warp_load_kernelILj256ELj16ELj32ELN6hipcub17WarpLoadAlgorithmE2EiEvPT3_S3_
; %bb.0:
	v_mbcnt_lo_u32_b32 v1, -1, 0
	s_load_dwordx4 s[0:3], s[4:5], 0x0
	v_mbcnt_hi_u32_b32 v3, -1, v1
	v_lshlrev_b32_e32 v1, 4, v0
	s_lshl_b32 s4, s6, 12
	v_and_b32_e32 v1, 0xe00, v1
	v_or_b32_e32 v17, s4, v1
	v_mov_b32_e32 v18, 0
	v_lshlrev_b64 v[1:2], 2, v[17:18]
	s_waitcnt lgkmcnt(0)
	v_mov_b32_e32 v4, s1
	v_add_co_u32_e32 v1, vcc, s0, v1
	v_lshlrev_b32_e32 v3, 6, v3
	v_addc_co_u32_e32 v2, vcc, v4, v2, vcc
	v_and_b32_e32 v3, 0x7c0, v3
	v_add_co_u32_e32 v19, vcc, v1, v3
	v_addc_co_u32_e32 v20, vcc, 0, v2, vcc
	global_load_dwordx4 v[1:4], v[19:20], off
	global_load_dwordx4 v[5:8], v[19:20], off offset:16
	v_or_b32_e32 v17, s4, v0
	v_lshlrev_b64 v[9:10], 2, v[17:18]
	v_mov_b32_e32 v0, s3
	v_add_co_u32_e32 v21, vcc, s2, v9
	v_addc_co_u32_e32 v22, vcc, v0, v10, vcc
	global_load_dwordx4 v[9:12], v[19:20], off offset:32
	global_load_dwordx4 v[13:16], v[19:20], off offset:48
	v_or_b32_e32 v0, 0x400, v17
	v_mov_b32_e32 v20, v18
	v_or_b32_e32 v19, 0x600, v17
	v_lshlrev_b64 v[19:20], 2, v[19:20]
	s_waitcnt vmcnt(3)
	global_store_dword v[21:22], v1, off
	global_store_dword v[21:22], v2, off offset:1024
	global_store_dword v[21:22], v3, off offset:2048
	;; [unrolled: 1-line block ×3, first 2 shown]
	v_mov_b32_e32 v1, v18
	v_lshlrev_b64 v[0:1], 2, v[0:1]
	v_mov_b32_e32 v2, s3
	v_add_co_u32_e32 v0, vcc, s2, v0
	v_addc_co_u32_e32 v1, vcc, v2, v1, vcc
	v_mov_b32_e32 v3, v18
	v_or_b32_e32 v2, 0x500, v17
	v_lshlrev_b64 v[2:3], 2, v[2:3]
	v_mov_b32_e32 v4, s3
	v_add_co_u32_e32 v2, vcc, s2, v2
	v_addc_co_u32_e32 v3, vcc, v4, v3, vcc
	v_mov_b32_e32 v22, v18
	v_or_b32_e32 v21, 0x700, v17
	v_add_co_u32_e32 v19, vcc, s2, v19
	v_lshlrev_b64 v[21:22], 2, v[21:22]
	v_addc_co_u32_e32 v20, vcc, v4, v20, vcc
	s_waitcnt vmcnt(6)
	global_store_dword v[0:1], v5, off
	global_store_dword v[2:3], v6, off
	v_mov_b32_e32 v1, v18
	v_or_b32_e32 v0, 0x800, v17
	v_add_co_u32_e32 v21, vcc, s2, v21
	v_lshlrev_b64 v[0:1], 2, v[0:1]
	v_addc_co_u32_e32 v22, vcc, v4, v22, vcc
	v_mov_b32_e32 v3, v18
	v_or_b32_e32 v2, 0x900, v17
	v_lshlrev_b64 v[2:3], 2, v[2:3]
	v_add_co_u32_e32 v0, vcc, s2, v0
	v_addc_co_u32_e32 v1, vcc, v4, v1, vcc
	v_mov_b32_e32 v5, s3
	s_waitcnt vmcnt(7)
	global_store_dword v[0:1], v9, off
	v_add_co_u32_e32 v0, vcc, s2, v2
	v_addc_co_u32_e32 v1, vcc, v5, v3, vcc
	global_store_dword v[0:1], v10, off
	v_or_b32_e32 v0, 0xa00, v17
	v_mov_b32_e32 v1, v18
	v_lshlrev_b64 v[0:1], 2, v[0:1]
	v_mov_b32_e32 v2, s3
	v_add_co_u32_e32 v0, vcc, s2, v0
	v_addc_co_u32_e32 v1, vcc, v2, v1, vcc
	global_store_dword v[0:1], v11, off
	v_or_b32_e32 v0, 0xb00, v17
	v_mov_b32_e32 v1, v18
	v_lshlrev_b64 v[0:1], 2, v[0:1]
	global_store_dword v[19:20], v7, off
	v_add_co_u32_e32 v0, vcc, s2, v0
	v_addc_co_u32_e32 v1, vcc, v2, v1, vcc
	global_store_dword v[0:1], v12, off
	v_or_b32_e32 v0, 0xc00, v17
	v_mov_b32_e32 v1, v18
	v_lshlrev_b64 v[0:1], 2, v[0:1]
	global_store_dword v[21:22], v8, off
	v_add_co_u32_e32 v0, vcc, s2, v0
	v_addc_co_u32_e32 v1, vcc, v2, v1, vcc
	s_waitcnt vmcnt(12)
	global_store_dword v[0:1], v13, off
	v_or_b32_e32 v0, 0xd00, v17
	v_mov_b32_e32 v1, v18
	v_lshlrev_b64 v[0:1], 2, v[0:1]
	v_add_co_u32_e32 v0, vcc, s2, v0
	v_addc_co_u32_e32 v1, vcc, v2, v1, vcc
	global_store_dword v[0:1], v14, off
	v_or_b32_e32 v0, 0xe00, v17
	v_mov_b32_e32 v1, v18
	v_lshlrev_b64 v[0:1], 2, v[0:1]
	v_or_b32_e32 v17, 0xf00, v17
	v_add_co_u32_e32 v0, vcc, s2, v0
	v_addc_co_u32_e32 v1, vcc, v2, v1, vcc
	global_store_dword v[0:1], v15, off
	v_lshlrev_b64 v[0:1], 2, v[17:18]
	v_add_co_u32_e32 v0, vcc, s2, v0
	v_addc_co_u32_e32 v1, vcc, v2, v1, vcc
	global_store_dword v[0:1], v16, off
	s_endpgm
	.section	.rodata,"a",@progbits
	.p2align	6, 0x0
	.amdhsa_kernel _Z16warp_load_kernelILj256ELj16ELj32ELN6hipcub17WarpLoadAlgorithmE2EiEvPT3_S3_
		.amdhsa_group_segment_fixed_size 0
		.amdhsa_private_segment_fixed_size 0
		.amdhsa_kernarg_size 16
		.amdhsa_user_sgpr_count 6
		.amdhsa_user_sgpr_private_segment_buffer 1
		.amdhsa_user_sgpr_dispatch_ptr 0
		.amdhsa_user_sgpr_queue_ptr 0
		.amdhsa_user_sgpr_kernarg_segment_ptr 1
		.amdhsa_user_sgpr_dispatch_id 0
		.amdhsa_user_sgpr_flat_scratch_init 0
		.amdhsa_user_sgpr_private_segment_size 0
		.amdhsa_uses_dynamic_stack 0
		.amdhsa_system_sgpr_private_segment_wavefront_offset 0
		.amdhsa_system_sgpr_workgroup_id_x 1
		.amdhsa_system_sgpr_workgroup_id_y 0
		.amdhsa_system_sgpr_workgroup_id_z 0
		.amdhsa_system_sgpr_workgroup_info 0
		.amdhsa_system_vgpr_workitem_id 0
		.amdhsa_next_free_vgpr 23
		.amdhsa_next_free_sgpr 7
		.amdhsa_reserve_vcc 1
		.amdhsa_reserve_flat_scratch 0
		.amdhsa_float_round_mode_32 0
		.amdhsa_float_round_mode_16_64 0
		.amdhsa_float_denorm_mode_32 3
		.amdhsa_float_denorm_mode_16_64 3
		.amdhsa_dx10_clamp 1
		.amdhsa_ieee_mode 1
		.amdhsa_fp16_overflow 0
		.amdhsa_exception_fp_ieee_invalid_op 0
		.amdhsa_exception_fp_denorm_src 0
		.amdhsa_exception_fp_ieee_div_zero 0
		.amdhsa_exception_fp_ieee_overflow 0
		.amdhsa_exception_fp_ieee_underflow 0
		.amdhsa_exception_fp_ieee_inexact 0
		.amdhsa_exception_int_div_zero 0
	.end_amdhsa_kernel
	.section	.text._Z16warp_load_kernelILj256ELj16ELj32ELN6hipcub17WarpLoadAlgorithmE2EiEvPT3_S3_,"axG",@progbits,_Z16warp_load_kernelILj256ELj16ELj32ELN6hipcub17WarpLoadAlgorithmE2EiEvPT3_S3_,comdat
.Lfunc_end10:
	.size	_Z16warp_load_kernelILj256ELj16ELj32ELN6hipcub17WarpLoadAlgorithmE2EiEvPT3_S3_, .Lfunc_end10-_Z16warp_load_kernelILj256ELj16ELj32ELN6hipcub17WarpLoadAlgorithmE2EiEvPT3_S3_
                                        ; -- End function
	.set _Z16warp_load_kernelILj256ELj16ELj32ELN6hipcub17WarpLoadAlgorithmE2EiEvPT3_S3_.num_vgpr, 23
	.set _Z16warp_load_kernelILj256ELj16ELj32ELN6hipcub17WarpLoadAlgorithmE2EiEvPT3_S3_.num_agpr, 0
	.set _Z16warp_load_kernelILj256ELj16ELj32ELN6hipcub17WarpLoadAlgorithmE2EiEvPT3_S3_.numbered_sgpr, 7
	.set _Z16warp_load_kernelILj256ELj16ELj32ELN6hipcub17WarpLoadAlgorithmE2EiEvPT3_S3_.num_named_barrier, 0
	.set _Z16warp_load_kernelILj256ELj16ELj32ELN6hipcub17WarpLoadAlgorithmE2EiEvPT3_S3_.private_seg_size, 0
	.set _Z16warp_load_kernelILj256ELj16ELj32ELN6hipcub17WarpLoadAlgorithmE2EiEvPT3_S3_.uses_vcc, 1
	.set _Z16warp_load_kernelILj256ELj16ELj32ELN6hipcub17WarpLoadAlgorithmE2EiEvPT3_S3_.uses_flat_scratch, 0
	.set _Z16warp_load_kernelILj256ELj16ELj32ELN6hipcub17WarpLoadAlgorithmE2EiEvPT3_S3_.has_dyn_sized_stack, 0
	.set _Z16warp_load_kernelILj256ELj16ELj32ELN6hipcub17WarpLoadAlgorithmE2EiEvPT3_S3_.has_recursion, 0
	.set _Z16warp_load_kernelILj256ELj16ELj32ELN6hipcub17WarpLoadAlgorithmE2EiEvPT3_S3_.has_indirect_call, 0
	.section	.AMDGPU.csdata,"",@progbits
; Kernel info:
; codeLenInByte = 644
; TotalNumSgprs: 11
; NumVgprs: 23
; ScratchSize: 0
; MemoryBound: 0
; FloatMode: 240
; IeeeMode: 1
; LDSByteSize: 0 bytes/workgroup (compile time only)
; SGPRBlocks: 1
; VGPRBlocks: 5
; NumSGPRsForWavesPerEU: 11
; NumVGPRsForWavesPerEU: 23
; Occupancy: 10
; WaveLimiterHint : 1
; COMPUTE_PGM_RSRC2:SCRATCH_EN: 0
; COMPUTE_PGM_RSRC2:USER_SGPR: 6
; COMPUTE_PGM_RSRC2:TRAP_HANDLER: 0
; COMPUTE_PGM_RSRC2:TGID_X_EN: 1
; COMPUTE_PGM_RSRC2:TGID_Y_EN: 0
; COMPUTE_PGM_RSRC2:TGID_Z_EN: 0
; COMPUTE_PGM_RSRC2:TIDIG_COMP_CNT: 0
	.section	.text._Z16warp_load_kernelILj256ELj16ELj32ELN6hipcub17WarpLoadAlgorithmE3EiEvPT3_S3_,"axG",@progbits,_Z16warp_load_kernelILj256ELj16ELj32ELN6hipcub17WarpLoadAlgorithmE3EiEvPT3_S3_,comdat
	.protected	_Z16warp_load_kernelILj256ELj16ELj32ELN6hipcub17WarpLoadAlgorithmE3EiEvPT3_S3_ ; -- Begin function _Z16warp_load_kernelILj256ELj16ELj32ELN6hipcub17WarpLoadAlgorithmE3EiEvPT3_S3_
	.globl	_Z16warp_load_kernelILj256ELj16ELj32ELN6hipcub17WarpLoadAlgorithmE3EiEvPT3_S3_
	.p2align	8
	.type	_Z16warp_load_kernelILj256ELj16ELj32ELN6hipcub17WarpLoadAlgorithmE3EiEvPT3_S3_,@function
_Z16warp_load_kernelILj256ELj16ELj32ELN6hipcub17WarpLoadAlgorithmE3EiEvPT3_S3_: ; @_Z16warp_load_kernelILj256ELj16ELj32ELN6hipcub17WarpLoadAlgorithmE3EiEvPT3_S3_
; %bb.0:
	s_load_dwordx4 s[0:3], s[4:5], 0x0
	v_lshrrev_b32_e32 v4, 5, v0
	v_mbcnt_lo_u32_b32 v1, -1, 0
	s_lshl_b32 s4, s6, 12
	v_mbcnt_hi_u32_b32 v1, -1, v1
	v_lshl_or_b32 v16, v4, 9, s4
	v_mov_b32_e32 v17, 0
	v_and_b32_e32 v6, 31, v1
	v_lshlrev_b64 v[1:2], 2, v[16:17]
	s_waitcnt lgkmcnt(0)
	v_mov_b32_e32 v3, s1
	v_add_co_u32_e32 v1, vcc, s0, v1
	v_addc_co_u32_e32 v2, vcc, v3, v2, vcc
	v_lshlrev_b32_e32 v7, 2, v6
	v_add_co_u32_e32 v1, vcc, v1, v7
	v_addc_co_u32_e32 v2, vcc, 0, v2, vcc
	global_load_dword v8, v[1:2], off
	global_load_dword v9, v[1:2], off offset:128
	global_load_dword v10, v[1:2], off offset:256
	;; [unrolled: 1-line block ×15, first 2 shown]
	v_lshlrev_b32_e32 v2, 11, v4
	v_or_b32_e32 v16, s4, v0
	v_lshl_or_b32 v33, v6, 6, v2
	v_or_b32_e32 v34, v2, v7
	v_lshlrev_b64 v[6:7], 2, v[16:17]
	v_mov_b32_e32 v1, v17
	v_or_b32_e32 v0, 0x400, v16
	v_lshlrev_b64 v[0:1], 2, v[0:1]
	v_mov_b32_e32 v20, s3
	v_add_co_u32_e32 v19, vcc, s2, v6
	v_mov_b32_e32 v3, v17
	v_or_b32_e32 v2, 0x500, v16
	v_addc_co_u32_e32 v20, vcc, v20, v7, vcc
	v_lshlrev_b64 v[2:3], 2, v[2:3]
	v_mov_b32_e32 v22, s3
	v_add_co_u32_e32 v21, vcc, s2, v0
	v_mov_b32_e32 v5, v17
	v_or_b32_e32 v4, 0x600, v16
	v_addc_co_u32_e32 v22, vcc, v22, v1, vcc
	v_lshlrev_b64 v[4:5], 2, v[4:5]
	v_mov_b32_e32 v24, s3
	v_add_co_u32_e32 v23, vcc, s2, v2
	v_add_u32_e32 v35, 0x400, v34
	v_addc_co_u32_e32 v24, vcc, v24, v3, vcc
	v_mov_b32_e32 v36, s3
	v_or_b32_e32 v18, 0x700, v16
	s_waitcnt vmcnt(14)
	ds_write2_b32 v34, v8, v9 offset1:32
	s_waitcnt vmcnt(12)
	ds_write2_b32 v34, v10, v11 offset0:64 offset1:96
	s_waitcnt vmcnt(10)
	ds_write2_b32 v34, v12, v13 offset0:128 offset1:160
	;; [unrolled: 2-line block ×3, first 2 shown]
	s_waitcnt vmcnt(6)
	ds_write2_b32 v35, v25, v26 offset1:32
	s_waitcnt vmcnt(4)
	ds_write2_b32 v35, v27, v28 offset0:64 offset1:96
	s_waitcnt vmcnt(2)
	ds_write2_b32 v35, v29, v30 offset0:128 offset1:160
	;; [unrolled: 2-line block ×3, first 2 shown]
	; wave barrier
	ds_read_b128 v[0:3], v33
	v_add_co_u32_e32 v25, vcc, s2, v4
	v_addc_co_u32_e32 v26, vcc, v36, v5, vcc
	ds_read_b128 v[4:7], v33 offset:16
	ds_read_b128 v[8:11], v33 offset:32
	;; [unrolled: 1-line block ×3, first 2 shown]
	s_waitcnt lgkmcnt(3)
	global_store_dword v[19:20], v0, off
	global_store_dword v[19:20], v1, off offset:1024
	global_store_dword v[19:20], v2, off offset:2048
	;; [unrolled: 1-line block ×3, first 2 shown]
	s_waitcnt lgkmcnt(2)
	global_store_dword v[21:22], v4, off
	global_store_dword v[23:24], v5, off
	;; [unrolled: 1-line block ×3, first 2 shown]
	v_mov_b32_e32 v19, v17
	v_lshlrev_b64 v[0:1], 2, v[18:19]
	v_mov_b32_e32 v2, s3
	v_add_co_u32_e32 v0, vcc, s2, v0
	v_addc_co_u32_e32 v1, vcc, v2, v1, vcc
	global_store_dword v[0:1], v7, off
	v_or_b32_e32 v0, 0x800, v16
	v_mov_b32_e32 v1, v17
	v_lshlrev_b64 v[0:1], 2, v[0:1]
	v_add_co_u32_e32 v0, vcc, s2, v0
	v_addc_co_u32_e32 v1, vcc, v2, v1, vcc
	s_waitcnt lgkmcnt(1)
	global_store_dword v[0:1], v8, off
	v_or_b32_e32 v0, 0x900, v16
	v_mov_b32_e32 v1, v17
	v_lshlrev_b64 v[0:1], 2, v[0:1]
	v_add_co_u32_e32 v0, vcc, s2, v0
	v_addc_co_u32_e32 v1, vcc, v2, v1, vcc
	global_store_dword v[0:1], v9, off
	v_or_b32_e32 v0, 0xa00, v16
	v_mov_b32_e32 v1, v17
	v_lshlrev_b64 v[0:1], 2, v[0:1]
	v_add_co_u32_e32 v0, vcc, s2, v0
	v_addc_co_u32_e32 v1, vcc, v2, v1, vcc
	;; [unrolled: 6-line block ×4, first 2 shown]
	s_waitcnt lgkmcnt(0)
	global_store_dword v[0:1], v12, off
	v_or_b32_e32 v0, 0xd00, v16
	v_mov_b32_e32 v1, v17
	v_lshlrev_b64 v[0:1], 2, v[0:1]
	v_add_co_u32_e32 v0, vcc, s2, v0
	v_addc_co_u32_e32 v1, vcc, v2, v1, vcc
	global_store_dword v[0:1], v13, off
	v_or_b32_e32 v0, 0xe00, v16
	v_mov_b32_e32 v1, v17
	v_lshlrev_b64 v[0:1], 2, v[0:1]
	v_or_b32_e32 v16, 0xf00, v16
	v_add_co_u32_e32 v0, vcc, s2, v0
	v_addc_co_u32_e32 v1, vcc, v2, v1, vcc
	global_store_dword v[0:1], v14, off
	v_lshlrev_b64 v[0:1], 2, v[16:17]
	v_add_co_u32_e32 v0, vcc, s2, v0
	v_addc_co_u32_e32 v1, vcc, v2, v1, vcc
	global_store_dword v[0:1], v15, off
	s_endpgm
	.section	.rodata,"a",@progbits
	.p2align	6, 0x0
	.amdhsa_kernel _Z16warp_load_kernelILj256ELj16ELj32ELN6hipcub17WarpLoadAlgorithmE3EiEvPT3_S3_
		.amdhsa_group_segment_fixed_size 16384
		.amdhsa_private_segment_fixed_size 0
		.amdhsa_kernarg_size 16
		.amdhsa_user_sgpr_count 6
		.amdhsa_user_sgpr_private_segment_buffer 1
		.amdhsa_user_sgpr_dispatch_ptr 0
		.amdhsa_user_sgpr_queue_ptr 0
		.amdhsa_user_sgpr_kernarg_segment_ptr 1
		.amdhsa_user_sgpr_dispatch_id 0
		.amdhsa_user_sgpr_flat_scratch_init 0
		.amdhsa_user_sgpr_private_segment_size 0
		.amdhsa_uses_dynamic_stack 0
		.amdhsa_system_sgpr_private_segment_wavefront_offset 0
		.amdhsa_system_sgpr_workgroup_id_x 1
		.amdhsa_system_sgpr_workgroup_id_y 0
		.amdhsa_system_sgpr_workgroup_id_z 0
		.amdhsa_system_sgpr_workgroup_info 0
		.amdhsa_system_vgpr_workitem_id 0
		.amdhsa_next_free_vgpr 49
		.amdhsa_next_free_sgpr 98
		.amdhsa_reserve_vcc 1
		.amdhsa_reserve_flat_scratch 0
		.amdhsa_float_round_mode_32 0
		.amdhsa_float_round_mode_16_64 0
		.amdhsa_float_denorm_mode_32 3
		.amdhsa_float_denorm_mode_16_64 3
		.amdhsa_dx10_clamp 1
		.amdhsa_ieee_mode 1
		.amdhsa_fp16_overflow 0
		.amdhsa_exception_fp_ieee_invalid_op 0
		.amdhsa_exception_fp_denorm_src 0
		.amdhsa_exception_fp_ieee_div_zero 0
		.amdhsa_exception_fp_ieee_overflow 0
		.amdhsa_exception_fp_ieee_underflow 0
		.amdhsa_exception_fp_ieee_inexact 0
		.amdhsa_exception_int_div_zero 0
	.end_amdhsa_kernel
	.section	.text._Z16warp_load_kernelILj256ELj16ELj32ELN6hipcub17WarpLoadAlgorithmE3EiEvPT3_S3_,"axG",@progbits,_Z16warp_load_kernelILj256ELj16ELj32ELN6hipcub17WarpLoadAlgorithmE3EiEvPT3_S3_,comdat
.Lfunc_end11:
	.size	_Z16warp_load_kernelILj256ELj16ELj32ELN6hipcub17WarpLoadAlgorithmE3EiEvPT3_S3_, .Lfunc_end11-_Z16warp_load_kernelILj256ELj16ELj32ELN6hipcub17WarpLoadAlgorithmE3EiEvPT3_S3_
                                        ; -- End function
	.set _Z16warp_load_kernelILj256ELj16ELj32ELN6hipcub17WarpLoadAlgorithmE3EiEvPT3_S3_.num_vgpr, 37
	.set _Z16warp_load_kernelILj256ELj16ELj32ELN6hipcub17WarpLoadAlgorithmE3EiEvPT3_S3_.num_agpr, 0
	.set _Z16warp_load_kernelILj256ELj16ELj32ELN6hipcub17WarpLoadAlgorithmE3EiEvPT3_S3_.numbered_sgpr, 7
	.set _Z16warp_load_kernelILj256ELj16ELj32ELN6hipcub17WarpLoadAlgorithmE3EiEvPT3_S3_.num_named_barrier, 0
	.set _Z16warp_load_kernelILj256ELj16ELj32ELN6hipcub17WarpLoadAlgorithmE3EiEvPT3_S3_.private_seg_size, 0
	.set _Z16warp_load_kernelILj256ELj16ELj32ELN6hipcub17WarpLoadAlgorithmE3EiEvPT3_S3_.uses_vcc, 1
	.set _Z16warp_load_kernelILj256ELj16ELj32ELN6hipcub17WarpLoadAlgorithmE3EiEvPT3_S3_.uses_flat_scratch, 0
	.set _Z16warp_load_kernelILj256ELj16ELj32ELN6hipcub17WarpLoadAlgorithmE3EiEvPT3_S3_.has_dyn_sized_stack, 0
	.set _Z16warp_load_kernelILj256ELj16ELj32ELN6hipcub17WarpLoadAlgorithmE3EiEvPT3_S3_.has_recursion, 0
	.set _Z16warp_load_kernelILj256ELj16ELj32ELN6hipcub17WarpLoadAlgorithmE3EiEvPT3_S3_.has_indirect_call, 0
	.section	.AMDGPU.csdata,"",@progbits
; Kernel info:
; codeLenInByte = 884
; TotalNumSgprs: 11
; NumVgprs: 37
; ScratchSize: 0
; MemoryBound: 1
; FloatMode: 240
; IeeeMode: 1
; LDSByteSize: 16384 bytes/workgroup (compile time only)
; SGPRBlocks: 12
; VGPRBlocks: 12
; NumSGPRsForWavesPerEU: 102
; NumVGPRsForWavesPerEU: 49
; Occupancy: 4
; WaveLimiterHint : 1
; COMPUTE_PGM_RSRC2:SCRATCH_EN: 0
; COMPUTE_PGM_RSRC2:USER_SGPR: 6
; COMPUTE_PGM_RSRC2:TRAP_HANDLER: 0
; COMPUTE_PGM_RSRC2:TGID_X_EN: 1
; COMPUTE_PGM_RSRC2:TGID_Y_EN: 0
; COMPUTE_PGM_RSRC2:TGID_Z_EN: 0
; COMPUTE_PGM_RSRC2:TIDIG_COMP_CNT: 0
	.section	.text._Z16warp_load_kernelILj256ELj32ELj32ELN6hipcub17WarpLoadAlgorithmE0EiEvPT3_S3_,"axG",@progbits,_Z16warp_load_kernelILj256ELj32ELj32ELN6hipcub17WarpLoadAlgorithmE0EiEvPT3_S3_,comdat
	.protected	_Z16warp_load_kernelILj256ELj32ELj32ELN6hipcub17WarpLoadAlgorithmE0EiEvPT3_S3_ ; -- Begin function _Z16warp_load_kernelILj256ELj32ELj32ELN6hipcub17WarpLoadAlgorithmE0EiEvPT3_S3_
	.globl	_Z16warp_load_kernelILj256ELj32ELj32ELN6hipcub17WarpLoadAlgorithmE0EiEvPT3_S3_
	.p2align	8
	.type	_Z16warp_load_kernelILj256ELj32ELj32ELN6hipcub17WarpLoadAlgorithmE0EiEvPT3_S3_,@function
_Z16warp_load_kernelILj256ELj32ELj32ELN6hipcub17WarpLoadAlgorithmE0EiEvPT3_S3_: ; @_Z16warp_load_kernelILj256ELj32ELj32ELN6hipcub17WarpLoadAlgorithmE0EiEvPT3_S3_
; %bb.0:
	v_mbcnt_lo_u32_b32 v1, -1, 0
	s_load_dwordx4 s[0:3], s[4:5], 0x0
	v_mbcnt_hi_u32_b32 v3, -1, v1
	v_lshlrev_b32_e32 v1, 5, v0
	s_lshl_b32 s4, s6, 13
	v_and_b32_e32 v1, 0x1c00, v1
	v_or_b32_e32 v33, s4, v1
	v_mov_b32_e32 v34, 0
	v_lshlrev_b64 v[1:2], 2, v[33:34]
	s_waitcnt lgkmcnt(0)
	v_mov_b32_e32 v4, s1
	v_add_co_u32_e32 v1, vcc, s0, v1
	v_lshlrev_b32_e32 v3, 7, v3
	v_addc_co_u32_e32 v2, vcc, v4, v2, vcc
	v_and_b32_e32 v3, 0xf80, v3
	v_add_co_u32_e32 v35, vcc, v1, v3
	v_addc_co_u32_e32 v36, vcc, 0, v2, vcc
	global_load_dwordx4 v[1:4], v[35:36], off
	global_load_dwordx4 v[5:8], v[35:36], off offset:16
	global_load_dwordx4 v[9:12], v[35:36], off offset:32
	v_or_b32_e32 v33, s4, v0
	v_lshlrev_b64 v[13:14], 2, v[33:34]
	v_mov_b32_e32 v0, s3
	v_add_co_u32_e32 v37, vcc, s2, v13
	v_addc_co_u32_e32 v38, vcc, v0, v14, vcc
	global_load_dwordx4 v[13:16], v[35:36], off offset:48
	global_load_dwordx4 v[17:20], v[35:36], off offset:112
	;; [unrolled: 1-line block ×5, first 2 shown]
	v_or_b32_e32 v0, 0x400, v33
	v_mov_b32_e32 v36, v34
	v_or_b32_e32 v35, 0x600, v33
	v_lshlrev_b64 v[35:36], 2, v[35:36]
	s_waitcnt vmcnt(7)
	global_store_dword v[37:38], v1, off
	global_store_dword v[37:38], v2, off offset:1024
	global_store_dword v[37:38], v3, off offset:2048
	;; [unrolled: 1-line block ×3, first 2 shown]
	v_mov_b32_e32 v1, v34
	v_lshlrev_b64 v[0:1], 2, v[0:1]
	v_mov_b32_e32 v2, s3
	v_add_co_u32_e32 v0, vcc, s2, v0
	v_addc_co_u32_e32 v1, vcc, v2, v1, vcc
	v_mov_b32_e32 v3, v34
	v_or_b32_e32 v2, 0x500, v33
	v_lshlrev_b64 v[2:3], 2, v[2:3]
	v_mov_b32_e32 v4, s3
	v_add_co_u32_e32 v2, vcc, s2, v2
	v_addc_co_u32_e32 v3, vcc, v4, v3, vcc
	v_mov_b32_e32 v38, v34
	v_or_b32_e32 v37, 0x700, v33
	v_add_co_u32_e32 v35, vcc, s2, v35
	v_lshlrev_b64 v[37:38], 2, v[37:38]
	v_addc_co_u32_e32 v36, vcc, v4, v36, vcc
	s_waitcnt vmcnt(10)
	global_store_dword v[0:1], v5, off
	global_store_dword v[2:3], v6, off
	v_mov_b32_e32 v1, v34
	v_or_b32_e32 v0, 0x800, v33
	v_add_co_u32_e32 v37, vcc, s2, v37
	v_lshlrev_b64 v[0:1], 2, v[0:1]
	v_addc_co_u32_e32 v38, vcc, v4, v38, vcc
	v_mov_b32_e32 v3, v34
	v_or_b32_e32 v2, 0x900, v33
	v_lshlrev_b64 v[2:3], 2, v[2:3]
	v_add_co_u32_e32 v0, vcc, s2, v0
	v_addc_co_u32_e32 v1, vcc, v4, v1, vcc
	v_mov_b32_e32 v5, s3
	v_add_co_u32_e32 v2, vcc, s2, v2
	v_addc_co_u32_e32 v3, vcc, v5, v3, vcc
	v_or_b32_e32 v4, 0xa00, v33
	v_mov_b32_e32 v5, v34
	v_lshlrev_b64 v[4:5], 2, v[4:5]
	v_mov_b32_e32 v6, s3
	v_add_co_u32_e32 v4, vcc, s2, v4
	global_store_dword v[35:36], v7, off
	v_addc_co_u32_e32 v5, vcc, v6, v5, vcc
	v_or_b32_e32 v6, 0xb00, v33
	v_mov_b32_e32 v7, v34
	v_lshlrev_b64 v[6:7], 2, v[6:7]
	global_store_dword v[37:38], v8, off
	v_mov_b32_e32 v8, s3
	v_add_co_u32_e32 v6, vcc, s2, v6
	v_addc_co_u32_e32 v7, vcc, v8, v7, vcc
	s_waitcnt vmcnt(13)
	global_store_dword v[0:1], v9, off
	global_store_dword v[2:3], v10, off
	;; [unrolled: 1-line block ×4, first 2 shown]
	v_or_b32_e32 v0, 0xc00, v33
	v_mov_b32_e32 v1, v34
	v_lshlrev_b64 v[0:1], 2, v[0:1]
	v_mov_b32_e32 v2, s3
	v_add_co_u32_e32 v0, vcc, s2, v0
	v_addc_co_u32_e32 v1, vcc, v2, v1, vcc
	v_or_b32_e32 v2, 0xd00, v33
	v_mov_b32_e32 v3, v34
	v_lshlrev_b64 v[2:3], 2, v[2:3]
	v_mov_b32_e32 v4, s3
	v_add_co_u32_e32 v2, vcc, s2, v2
	v_addc_co_u32_e32 v3, vcc, v4, v3, vcc
	;; [unrolled: 6-line block ×3, first 2 shown]
	v_or_b32_e32 v6, 0xf00, v33
	v_mov_b32_e32 v7, v34
	v_lshlrev_b64 v[6:7], 2, v[6:7]
	v_add_co_u32_e32 v6, vcc, s2, v6
	v_addc_co_u32_e32 v7, vcc, v8, v7, vcc
	s_waitcnt vmcnt(16)
	global_store_dword v[0:1], v13, off
	global_store_dword v[2:3], v14, off
	;; [unrolled: 1-line block ×4, first 2 shown]
	v_or_b32_e32 v0, 0x1000, v33
	v_mov_b32_e32 v1, v34
	v_lshlrev_b64 v[0:1], 2, v[0:1]
	v_mov_b32_e32 v2, s3
	v_add_co_u32_e32 v0, vcc, s2, v0
	v_addc_co_u32_e32 v1, vcc, v2, v1, vcc
	v_or_b32_e32 v2, 0x1100, v33
	v_mov_b32_e32 v3, v34
	v_lshlrev_b64 v[2:3], 2, v[2:3]
	v_mov_b32_e32 v4, s3
	v_add_co_u32_e32 v2, vcc, s2, v2
	v_addc_co_u32_e32 v3, vcc, v4, v3, vcc
	;; [unrolled: 6-line block ×3, first 2 shown]
	v_or_b32_e32 v6, 0x1300, v33
	v_mov_b32_e32 v7, v34
	v_lshlrev_b64 v[6:7], 2, v[6:7]
	v_add_co_u32_e32 v6, vcc, s2, v6
	v_addc_co_u32_e32 v7, vcc, v8, v7, vcc
	s_waitcnt vmcnt(16)
	global_store_dword v[0:1], v29, off
	global_store_dword v[2:3], v30, off
	;; [unrolled: 1-line block ×4, first 2 shown]
	v_or_b32_e32 v0, 0x1400, v33
	v_mov_b32_e32 v1, v34
	v_lshlrev_b64 v[0:1], 2, v[0:1]
	v_mov_b32_e32 v2, s3
	v_add_co_u32_e32 v0, vcc, s2, v0
	v_addc_co_u32_e32 v1, vcc, v2, v1, vcc
	global_store_dword v[0:1], v25, off
	v_or_b32_e32 v0, 0x1500, v33
	v_mov_b32_e32 v1, v34
	v_lshlrev_b64 v[0:1], 2, v[0:1]
	v_add_co_u32_e32 v0, vcc, s2, v0
	v_addc_co_u32_e32 v1, vcc, v2, v1, vcc
	global_store_dword v[0:1], v26, off
	v_or_b32_e32 v0, 0x1600, v33
	v_mov_b32_e32 v1, v34
	v_lshlrev_b64 v[0:1], 2, v[0:1]
	;; [unrolled: 6-line block ×10, first 2 shown]
	v_or_b32_e32 v33, 0x1f00, v33
	v_add_co_u32_e32 v0, vcc, s2, v0
	v_addc_co_u32_e32 v1, vcc, v2, v1, vcc
	global_store_dword v[0:1], v19, off
	v_lshlrev_b64 v[0:1], 2, v[33:34]
	v_add_co_u32_e32 v0, vcc, s2, v0
	v_addc_co_u32_e32 v1, vcc, v2, v1, vcc
	global_store_dword v[0:1], v20, off
	s_endpgm
	.section	.rodata,"a",@progbits
	.p2align	6, 0x0
	.amdhsa_kernel _Z16warp_load_kernelILj256ELj32ELj32ELN6hipcub17WarpLoadAlgorithmE0EiEvPT3_S3_
		.amdhsa_group_segment_fixed_size 0
		.amdhsa_private_segment_fixed_size 0
		.amdhsa_kernarg_size 16
		.amdhsa_user_sgpr_count 6
		.amdhsa_user_sgpr_private_segment_buffer 1
		.amdhsa_user_sgpr_dispatch_ptr 0
		.amdhsa_user_sgpr_queue_ptr 0
		.amdhsa_user_sgpr_kernarg_segment_ptr 1
		.amdhsa_user_sgpr_dispatch_id 0
		.amdhsa_user_sgpr_flat_scratch_init 0
		.amdhsa_user_sgpr_private_segment_size 0
		.amdhsa_uses_dynamic_stack 0
		.amdhsa_system_sgpr_private_segment_wavefront_offset 0
		.amdhsa_system_sgpr_workgroup_id_x 1
		.amdhsa_system_sgpr_workgroup_id_y 0
		.amdhsa_system_sgpr_workgroup_id_z 0
		.amdhsa_system_sgpr_workgroup_info 0
		.amdhsa_system_vgpr_workitem_id 0
		.amdhsa_next_free_vgpr 39
		.amdhsa_next_free_sgpr 7
		.amdhsa_reserve_vcc 1
		.amdhsa_reserve_flat_scratch 0
		.amdhsa_float_round_mode_32 0
		.amdhsa_float_round_mode_16_64 0
		.amdhsa_float_denorm_mode_32 3
		.amdhsa_float_denorm_mode_16_64 3
		.amdhsa_dx10_clamp 1
		.amdhsa_ieee_mode 1
		.amdhsa_fp16_overflow 0
		.amdhsa_exception_fp_ieee_invalid_op 0
		.amdhsa_exception_fp_denorm_src 0
		.amdhsa_exception_fp_ieee_div_zero 0
		.amdhsa_exception_fp_ieee_overflow 0
		.amdhsa_exception_fp_ieee_underflow 0
		.amdhsa_exception_fp_ieee_inexact 0
		.amdhsa_exception_int_div_zero 0
	.end_amdhsa_kernel
	.section	.text._Z16warp_load_kernelILj256ELj32ELj32ELN6hipcub17WarpLoadAlgorithmE0EiEvPT3_S3_,"axG",@progbits,_Z16warp_load_kernelILj256ELj32ELj32ELN6hipcub17WarpLoadAlgorithmE0EiEvPT3_S3_,comdat
.Lfunc_end12:
	.size	_Z16warp_load_kernelILj256ELj32ELj32ELN6hipcub17WarpLoadAlgorithmE0EiEvPT3_S3_, .Lfunc_end12-_Z16warp_load_kernelILj256ELj32ELj32ELN6hipcub17WarpLoadAlgorithmE0EiEvPT3_S3_
                                        ; -- End function
	.set _Z16warp_load_kernelILj256ELj32ELj32ELN6hipcub17WarpLoadAlgorithmE0EiEvPT3_S3_.num_vgpr, 39
	.set _Z16warp_load_kernelILj256ELj32ELj32ELN6hipcub17WarpLoadAlgorithmE0EiEvPT3_S3_.num_agpr, 0
	.set _Z16warp_load_kernelILj256ELj32ELj32ELN6hipcub17WarpLoadAlgorithmE0EiEvPT3_S3_.numbered_sgpr, 7
	.set _Z16warp_load_kernelILj256ELj32ELj32ELN6hipcub17WarpLoadAlgorithmE0EiEvPT3_S3_.num_named_barrier, 0
	.set _Z16warp_load_kernelILj256ELj32ELj32ELN6hipcub17WarpLoadAlgorithmE0EiEvPT3_S3_.private_seg_size, 0
	.set _Z16warp_load_kernelILj256ELj32ELj32ELN6hipcub17WarpLoadAlgorithmE0EiEvPT3_S3_.uses_vcc, 1
	.set _Z16warp_load_kernelILj256ELj32ELj32ELN6hipcub17WarpLoadAlgorithmE0EiEvPT3_S3_.uses_flat_scratch, 0
	.set _Z16warp_load_kernelILj256ELj32ELj32ELN6hipcub17WarpLoadAlgorithmE0EiEvPT3_S3_.has_dyn_sized_stack, 0
	.set _Z16warp_load_kernelILj256ELj32ELj32ELN6hipcub17WarpLoadAlgorithmE0EiEvPT3_S3_.has_recursion, 0
	.set _Z16warp_load_kernelILj256ELj32ELj32ELN6hipcub17WarpLoadAlgorithmE0EiEvPT3_S3_.has_indirect_call, 0
	.section	.AMDGPU.csdata,"",@progbits
; Kernel info:
; codeLenInByte = 1288
; TotalNumSgprs: 11
; NumVgprs: 39
; ScratchSize: 0
; MemoryBound: 0
; FloatMode: 240
; IeeeMode: 1
; LDSByteSize: 0 bytes/workgroup (compile time only)
; SGPRBlocks: 1
; VGPRBlocks: 9
; NumSGPRsForWavesPerEU: 11
; NumVGPRsForWavesPerEU: 39
; Occupancy: 6
; WaveLimiterHint : 1
; COMPUTE_PGM_RSRC2:SCRATCH_EN: 0
; COMPUTE_PGM_RSRC2:USER_SGPR: 6
; COMPUTE_PGM_RSRC2:TRAP_HANDLER: 0
; COMPUTE_PGM_RSRC2:TGID_X_EN: 1
; COMPUTE_PGM_RSRC2:TGID_Y_EN: 0
; COMPUTE_PGM_RSRC2:TGID_Z_EN: 0
; COMPUTE_PGM_RSRC2:TIDIG_COMP_CNT: 0
	.section	.text._Z16warp_load_kernelILj256ELj32ELj32ELN6hipcub17WarpLoadAlgorithmE1EiEvPT3_S3_,"axG",@progbits,_Z16warp_load_kernelILj256ELj32ELj32ELN6hipcub17WarpLoadAlgorithmE1EiEvPT3_S3_,comdat
	.protected	_Z16warp_load_kernelILj256ELj32ELj32ELN6hipcub17WarpLoadAlgorithmE1EiEvPT3_S3_ ; -- Begin function _Z16warp_load_kernelILj256ELj32ELj32ELN6hipcub17WarpLoadAlgorithmE1EiEvPT3_S3_
	.globl	_Z16warp_load_kernelILj256ELj32ELj32ELN6hipcub17WarpLoadAlgorithmE1EiEvPT3_S3_
	.p2align	8
	.type	_Z16warp_load_kernelILj256ELj32ELj32ELN6hipcub17WarpLoadAlgorithmE1EiEvPT3_S3_,@function
_Z16warp_load_kernelILj256ELj32ELj32ELN6hipcub17WarpLoadAlgorithmE1EiEvPT3_S3_: ; @_Z16warp_load_kernelILj256ELj32ELj32ELN6hipcub17WarpLoadAlgorithmE1EiEvPT3_S3_
; %bb.0:
	v_mbcnt_lo_u32_b32 v1, -1, 0
	v_mbcnt_hi_u32_b32 v1, -1, v1
	s_load_dwordx4 s[0:3], s[4:5], 0x0
	v_and_b32_e32 v5, 31, v1
	v_lshlrev_b32_e32 v1, 5, v0
	s_lshl_b32 s4, s6, 13
	v_and_b32_e32 v1, 0x1c00, v1
	v_or_b32_e32 v1, s4, v1
	v_mov_b32_e32 v2, 0
	v_lshlrev_b64 v[3:4], 2, v[1:2]
	s_waitcnt lgkmcnt(0)
	v_mov_b32_e32 v1, s1
	v_add_co_u32_e32 v3, vcc, s0, v3
	v_addc_co_u32_e32 v1, vcc, v1, v4, vcc
	v_lshlrev_b32_e32 v4, 2, v5
	v_add_co_u32_e32 v3, vcc, v3, v4
	v_addc_co_u32_e32 v4, vcc, 0, v1, vcc
	global_load_dword v13, v[3:4], off
	global_load_dword v14, v[3:4], off offset:128
	global_load_dword v15, v[3:4], off offset:256
	;; [unrolled: 1-line block ×8, first 2 shown]
	v_or_b32_e32 v1, s4, v0
	global_load_dword v0, v[3:4], off offset:1152
	global_load_dword v26, v[3:4], off offset:1280
	v_lshlrev_b64 v[11:12], 2, v[1:2]
	v_mov_b32_e32 v22, s3
	v_add_co_u32_e32 v11, vcc, s2, v11
	v_addc_co_u32_e32 v12, vcc, v22, v12, vcc
	global_load_dword v22, v[3:4], off offset:1408
	v_mov_b32_e32 v6, v2
	v_or_b32_e32 v5, 0x400, v1
	v_lshlrev_b64 v[5:6], 2, v[5:6]
	v_mov_b32_e32 v8, v2
	v_or_b32_e32 v7, 0x500, v1
	v_mov_b32_e32 v23, s3
	v_lshlrev_b64 v[7:8], 2, v[7:8]
	v_add_co_u32_e32 v5, vcc, s2, v5
	v_addc_co_u32_e32 v6, vcc, v23, v6, vcc
	v_mov_b32_e32 v24, s3
	v_add_co_u32_e32 v7, vcc, s2, v7
	v_addc_co_u32_e32 v8, vcc, v24, v8, vcc
	global_load_dword v23, v[3:4], off offset:1536
	global_load_dword v24, v[3:4], off offset:1664
	global_load_dword v27, v[3:4], off offset:1792
	global_load_dword v28, v[3:4], off offset:1920
	global_load_dword v29, v[3:4], off offset:2048
	global_load_dword v30, v[3:4], off offset:2176
	global_load_dword v31, v[3:4], off offset:2304
	global_load_dword v32, v[3:4], off offset:2432
	global_load_dword v33, v[3:4], off offset:2560
	global_load_dword v34, v[3:4], off offset:2688
	global_load_dword v35, v[3:4], off offset:2816
	global_load_dword v36, v[3:4], off offset:2944
	global_load_dword v37, v[3:4], off offset:3072
	global_load_dword v38, v[3:4], off offset:3200
	global_load_dword v39, v[3:4], off offset:3328
	global_load_dword v40, v[3:4], off offset:3456
	global_load_dword v41, v[3:4], off offset:3584
	global_load_dword v42, v[3:4], off offset:3712
	global_load_dword v43, v[3:4], off offset:3840
	global_load_dword v44, v[3:4], off offset:3968
	v_mov_b32_e32 v10, v2
	v_or_b32_e32 v9, 0x600, v1
	v_lshlrev_b64 v[9:10], 2, v[9:10]
	v_mov_b32_e32 v25, s3
	v_add_co_u32_e32 v3, vcc, s2, v9
	v_addc_co_u32_e32 v4, vcc, v25, v10, vcc
	s_waitcnt vmcnt(31)
	global_store_dword v[11:12], v13, off
	s_waitcnt vmcnt(31)
	global_store_dword v[11:12], v14, off offset:1024
	s_waitcnt vmcnt(31)
	global_store_dword v[11:12], v15, off offset:2048
	;; [unrolled: 2-line block ×3, first 2 shown]
	s_waitcnt vmcnt(31)
	global_store_dword v[5:6], v17, off
	s_waitcnt vmcnt(31)
	global_store_dword v[7:8], v18, off
	s_waitcnt vmcnt(31)
	global_store_dword v[3:4], v19, off
	v_or_b32_e32 v3, 0x700, v1
	v_mov_b32_e32 v4, v2
	v_lshlrev_b64 v[3:4], 2, v[3:4]
	v_mov_b32_e32 v5, s3
	v_add_co_u32_e32 v3, vcc, s2, v3
	v_addc_co_u32_e32 v4, vcc, v5, v4, vcc
	s_waitcnt vmcnt(31)
	global_store_dword v[3:4], v20, off
	v_or_b32_e32 v3, 0x800, v1
	v_mov_b32_e32 v4, v2
	v_lshlrev_b64 v[3:4], 2, v[3:4]
	v_add_co_u32_e32 v3, vcc, s2, v3
	v_addc_co_u32_e32 v4, vcc, v5, v4, vcc
	s_waitcnt vmcnt(31)
	global_store_dword v[3:4], v21, off
	v_or_b32_e32 v3, 0x900, v1
	v_mov_b32_e32 v4, v2
	v_lshlrev_b64 v[3:4], 2, v[3:4]
	;; [unrolled: 7-line block ×3, first 2 shown]
	v_mov_b32_e32 v0, s3
	v_add_co_u32_e32 v3, vcc, s2, v3
	v_addc_co_u32_e32 v4, vcc, v0, v4, vcc
	s_waitcnt vmcnt(31)
	global_store_dword v[3:4], v26, off
	v_or_b32_e32 v3, 0xb00, v1
	v_mov_b32_e32 v4, v2
	v_lshlrev_b64 v[3:4], 2, v[3:4]
	v_add_co_u32_e32 v3, vcc, s2, v3
	v_addc_co_u32_e32 v4, vcc, v0, v4, vcc
	s_waitcnt vmcnt(31)
	global_store_dword v[3:4], v22, off
	v_or_b32_e32 v3, 0xc00, v1
	v_mov_b32_e32 v4, v2
	v_lshlrev_b64 v[3:4], 2, v[3:4]
	;; [unrolled: 7-line block ×20, first 2 shown]
	v_or_b32_e32 v1, 0x1f00, v1
	v_add_co_u32_e32 v3, vcc, s2, v3
	v_addc_co_u32_e32 v4, vcc, v0, v4, vcc
	v_lshlrev_b64 v[0:1], 2, v[1:2]
	v_mov_b32_e32 v2, s3
	v_add_co_u32_e32 v0, vcc, s2, v0
	v_addc_co_u32_e32 v1, vcc, v2, v1, vcc
	s_waitcnt vmcnt(31)
	global_store_dword v[3:4], v43, off
	s_waitcnt vmcnt(31)
	global_store_dword v[0:1], v44, off
	s_endpgm
	.section	.rodata,"a",@progbits
	.p2align	6, 0x0
	.amdhsa_kernel _Z16warp_load_kernelILj256ELj32ELj32ELN6hipcub17WarpLoadAlgorithmE1EiEvPT3_S3_
		.amdhsa_group_segment_fixed_size 0
		.amdhsa_private_segment_fixed_size 0
		.amdhsa_kernarg_size 16
		.amdhsa_user_sgpr_count 6
		.amdhsa_user_sgpr_private_segment_buffer 1
		.amdhsa_user_sgpr_dispatch_ptr 0
		.amdhsa_user_sgpr_queue_ptr 0
		.amdhsa_user_sgpr_kernarg_segment_ptr 1
		.amdhsa_user_sgpr_dispatch_id 0
		.amdhsa_user_sgpr_flat_scratch_init 0
		.amdhsa_user_sgpr_private_segment_size 0
		.amdhsa_uses_dynamic_stack 0
		.amdhsa_system_sgpr_private_segment_wavefront_offset 0
		.amdhsa_system_sgpr_workgroup_id_x 1
		.amdhsa_system_sgpr_workgroup_id_y 0
		.amdhsa_system_sgpr_workgroup_id_z 0
		.amdhsa_system_sgpr_workgroup_info 0
		.amdhsa_system_vgpr_workitem_id 0
		.amdhsa_next_free_vgpr 45
		.amdhsa_next_free_sgpr 7
		.amdhsa_reserve_vcc 1
		.amdhsa_reserve_flat_scratch 0
		.amdhsa_float_round_mode_32 0
		.amdhsa_float_round_mode_16_64 0
		.amdhsa_float_denorm_mode_32 3
		.amdhsa_float_denorm_mode_16_64 3
		.amdhsa_dx10_clamp 1
		.amdhsa_ieee_mode 1
		.amdhsa_fp16_overflow 0
		.amdhsa_exception_fp_ieee_invalid_op 0
		.amdhsa_exception_fp_denorm_src 0
		.amdhsa_exception_fp_ieee_div_zero 0
		.amdhsa_exception_fp_ieee_overflow 0
		.amdhsa_exception_fp_ieee_underflow 0
		.amdhsa_exception_fp_ieee_inexact 0
		.amdhsa_exception_int_div_zero 0
	.end_amdhsa_kernel
	.section	.text._Z16warp_load_kernelILj256ELj32ELj32ELN6hipcub17WarpLoadAlgorithmE1EiEvPT3_S3_,"axG",@progbits,_Z16warp_load_kernelILj256ELj32ELj32ELN6hipcub17WarpLoadAlgorithmE1EiEvPT3_S3_,comdat
.Lfunc_end13:
	.size	_Z16warp_load_kernelILj256ELj32ELj32ELN6hipcub17WarpLoadAlgorithmE1EiEvPT3_S3_, .Lfunc_end13-_Z16warp_load_kernelILj256ELj32ELj32ELN6hipcub17WarpLoadAlgorithmE1EiEvPT3_S3_
                                        ; -- End function
	.set _Z16warp_load_kernelILj256ELj32ELj32ELN6hipcub17WarpLoadAlgorithmE1EiEvPT3_S3_.num_vgpr, 45
	.set _Z16warp_load_kernelILj256ELj32ELj32ELN6hipcub17WarpLoadAlgorithmE1EiEvPT3_S3_.num_agpr, 0
	.set _Z16warp_load_kernelILj256ELj32ELj32ELN6hipcub17WarpLoadAlgorithmE1EiEvPT3_S3_.numbered_sgpr, 7
	.set _Z16warp_load_kernelILj256ELj32ELj32ELN6hipcub17WarpLoadAlgorithmE1EiEvPT3_S3_.num_named_barrier, 0
	.set _Z16warp_load_kernelILj256ELj32ELj32ELN6hipcub17WarpLoadAlgorithmE1EiEvPT3_S3_.private_seg_size, 0
	.set _Z16warp_load_kernelILj256ELj32ELj32ELN6hipcub17WarpLoadAlgorithmE1EiEvPT3_S3_.uses_vcc, 1
	.set _Z16warp_load_kernelILj256ELj32ELj32ELN6hipcub17WarpLoadAlgorithmE1EiEvPT3_S3_.uses_flat_scratch, 0
	.set _Z16warp_load_kernelILj256ELj32ELj32ELN6hipcub17WarpLoadAlgorithmE1EiEvPT3_S3_.has_dyn_sized_stack, 0
	.set _Z16warp_load_kernelILj256ELj32ELj32ELN6hipcub17WarpLoadAlgorithmE1EiEvPT3_S3_.has_recursion, 0
	.set _Z16warp_load_kernelILj256ELj32ELj32ELN6hipcub17WarpLoadAlgorithmE1EiEvPT3_S3_.has_indirect_call, 0
	.section	.AMDGPU.csdata,"",@progbits
; Kernel info:
; codeLenInByte = 1560
; TotalNumSgprs: 11
; NumVgprs: 45
; ScratchSize: 0
; MemoryBound: 0
; FloatMode: 240
; IeeeMode: 1
; LDSByteSize: 0 bytes/workgroup (compile time only)
; SGPRBlocks: 1
; VGPRBlocks: 11
; NumSGPRsForWavesPerEU: 11
; NumVGPRsForWavesPerEU: 45
; Occupancy: 5
; WaveLimiterHint : 1
; COMPUTE_PGM_RSRC2:SCRATCH_EN: 0
; COMPUTE_PGM_RSRC2:USER_SGPR: 6
; COMPUTE_PGM_RSRC2:TRAP_HANDLER: 0
; COMPUTE_PGM_RSRC2:TGID_X_EN: 1
; COMPUTE_PGM_RSRC2:TGID_Y_EN: 0
; COMPUTE_PGM_RSRC2:TGID_Z_EN: 0
; COMPUTE_PGM_RSRC2:TIDIG_COMP_CNT: 0
	.section	.text._Z16warp_load_kernelILj256ELj32ELj32ELN6hipcub17WarpLoadAlgorithmE2EiEvPT3_S3_,"axG",@progbits,_Z16warp_load_kernelILj256ELj32ELj32ELN6hipcub17WarpLoadAlgorithmE2EiEvPT3_S3_,comdat
	.protected	_Z16warp_load_kernelILj256ELj32ELj32ELN6hipcub17WarpLoadAlgorithmE2EiEvPT3_S3_ ; -- Begin function _Z16warp_load_kernelILj256ELj32ELj32ELN6hipcub17WarpLoadAlgorithmE2EiEvPT3_S3_
	.globl	_Z16warp_load_kernelILj256ELj32ELj32ELN6hipcub17WarpLoadAlgorithmE2EiEvPT3_S3_
	.p2align	8
	.type	_Z16warp_load_kernelILj256ELj32ELj32ELN6hipcub17WarpLoadAlgorithmE2EiEvPT3_S3_,@function
_Z16warp_load_kernelILj256ELj32ELj32ELN6hipcub17WarpLoadAlgorithmE2EiEvPT3_S3_: ; @_Z16warp_load_kernelILj256ELj32ELj32ELN6hipcub17WarpLoadAlgorithmE2EiEvPT3_S3_
; %bb.0:
	v_mbcnt_lo_u32_b32 v1, -1, 0
	s_load_dwordx4 s[0:3], s[4:5], 0x0
	v_mbcnt_hi_u32_b32 v3, -1, v1
	v_lshlrev_b32_e32 v1, 5, v0
	s_lshl_b32 s4, s6, 13
	v_and_b32_e32 v1, 0x1c00, v1
	v_or_b32_e32 v33, s4, v1
	v_mov_b32_e32 v34, 0
	v_lshlrev_b64 v[1:2], 2, v[33:34]
	s_waitcnt lgkmcnt(0)
	v_mov_b32_e32 v4, s1
	v_add_co_u32_e32 v1, vcc, s0, v1
	v_lshlrev_b32_e32 v3, 7, v3
	v_addc_co_u32_e32 v2, vcc, v4, v2, vcc
	v_and_b32_e32 v3, 0xf80, v3
	v_add_co_u32_e32 v35, vcc, v1, v3
	v_addc_co_u32_e32 v36, vcc, 0, v2, vcc
	global_load_dwordx4 v[1:4], v[35:36], off
	global_load_dwordx4 v[5:8], v[35:36], off offset:16
	global_load_dwordx4 v[9:12], v[35:36], off offset:32
	v_or_b32_e32 v33, s4, v0
	v_lshlrev_b64 v[13:14], 2, v[33:34]
	v_mov_b32_e32 v0, s3
	v_add_co_u32_e32 v37, vcc, s2, v13
	v_addc_co_u32_e32 v38, vcc, v0, v14, vcc
	global_load_dwordx4 v[13:16], v[35:36], off offset:48
	global_load_dwordx4 v[17:20], v[35:36], off offset:112
	global_load_dwordx4 v[21:24], v[35:36], off offset:96
	global_load_dwordx4 v[25:28], v[35:36], off offset:80
	global_load_dwordx4 v[29:32], v[35:36], off offset:64
	v_or_b32_e32 v0, 0x400, v33
	v_mov_b32_e32 v36, v34
	v_or_b32_e32 v35, 0x600, v33
	v_lshlrev_b64 v[35:36], 2, v[35:36]
	s_waitcnt vmcnt(7)
	global_store_dword v[37:38], v1, off
	global_store_dword v[37:38], v2, off offset:1024
	global_store_dword v[37:38], v3, off offset:2048
	;; [unrolled: 1-line block ×3, first 2 shown]
	v_mov_b32_e32 v1, v34
	v_lshlrev_b64 v[0:1], 2, v[0:1]
	v_mov_b32_e32 v2, s3
	v_add_co_u32_e32 v0, vcc, s2, v0
	v_addc_co_u32_e32 v1, vcc, v2, v1, vcc
	v_mov_b32_e32 v3, v34
	v_or_b32_e32 v2, 0x500, v33
	v_lshlrev_b64 v[2:3], 2, v[2:3]
	v_mov_b32_e32 v4, s3
	v_add_co_u32_e32 v2, vcc, s2, v2
	v_addc_co_u32_e32 v3, vcc, v4, v3, vcc
	v_mov_b32_e32 v38, v34
	v_or_b32_e32 v37, 0x700, v33
	v_add_co_u32_e32 v35, vcc, s2, v35
	v_lshlrev_b64 v[37:38], 2, v[37:38]
	v_addc_co_u32_e32 v36, vcc, v4, v36, vcc
	s_waitcnt vmcnt(10)
	global_store_dword v[0:1], v5, off
	global_store_dword v[2:3], v6, off
	v_mov_b32_e32 v1, v34
	v_or_b32_e32 v0, 0x800, v33
	v_add_co_u32_e32 v37, vcc, s2, v37
	v_lshlrev_b64 v[0:1], 2, v[0:1]
	v_addc_co_u32_e32 v38, vcc, v4, v38, vcc
	v_mov_b32_e32 v3, v34
	v_or_b32_e32 v2, 0x900, v33
	v_lshlrev_b64 v[2:3], 2, v[2:3]
	v_add_co_u32_e32 v0, vcc, s2, v0
	v_addc_co_u32_e32 v1, vcc, v4, v1, vcc
	v_mov_b32_e32 v5, s3
	v_add_co_u32_e32 v2, vcc, s2, v2
	v_addc_co_u32_e32 v3, vcc, v5, v3, vcc
	v_or_b32_e32 v4, 0xa00, v33
	v_mov_b32_e32 v5, v34
	v_lshlrev_b64 v[4:5], 2, v[4:5]
	v_mov_b32_e32 v6, s3
	v_add_co_u32_e32 v4, vcc, s2, v4
	global_store_dword v[35:36], v7, off
	v_addc_co_u32_e32 v5, vcc, v6, v5, vcc
	v_or_b32_e32 v6, 0xb00, v33
	v_mov_b32_e32 v7, v34
	v_lshlrev_b64 v[6:7], 2, v[6:7]
	global_store_dword v[37:38], v8, off
	v_mov_b32_e32 v8, s3
	v_add_co_u32_e32 v6, vcc, s2, v6
	v_addc_co_u32_e32 v7, vcc, v8, v7, vcc
	s_waitcnt vmcnt(13)
	global_store_dword v[0:1], v9, off
	global_store_dword v[2:3], v10, off
	;; [unrolled: 1-line block ×4, first 2 shown]
	v_or_b32_e32 v0, 0xc00, v33
	v_mov_b32_e32 v1, v34
	v_lshlrev_b64 v[0:1], 2, v[0:1]
	v_mov_b32_e32 v2, s3
	v_add_co_u32_e32 v0, vcc, s2, v0
	v_addc_co_u32_e32 v1, vcc, v2, v1, vcc
	v_or_b32_e32 v2, 0xd00, v33
	v_mov_b32_e32 v3, v34
	v_lshlrev_b64 v[2:3], 2, v[2:3]
	v_mov_b32_e32 v4, s3
	v_add_co_u32_e32 v2, vcc, s2, v2
	v_addc_co_u32_e32 v3, vcc, v4, v3, vcc
	v_or_b32_e32 v4, 0xe00, v33
	v_mov_b32_e32 v5, v34
	v_lshlrev_b64 v[4:5], 2, v[4:5]
	v_mov_b32_e32 v6, s3
	v_add_co_u32_e32 v4, vcc, s2, v4
	v_addc_co_u32_e32 v5, vcc, v6, v5, vcc
	v_or_b32_e32 v6, 0xf00, v33
	v_mov_b32_e32 v7, v34
	v_lshlrev_b64 v[6:7], 2, v[6:7]
	v_add_co_u32_e32 v6, vcc, s2, v6
	v_addc_co_u32_e32 v7, vcc, v8, v7, vcc
	s_waitcnt vmcnt(16)
	global_store_dword v[0:1], v13, off
	global_store_dword v[2:3], v14, off
	global_store_dword v[4:5], v15, off
	global_store_dword v[6:7], v16, off
	v_or_b32_e32 v0, 0x1000, v33
	v_mov_b32_e32 v1, v34
	v_lshlrev_b64 v[0:1], 2, v[0:1]
	v_mov_b32_e32 v2, s3
	v_add_co_u32_e32 v0, vcc, s2, v0
	v_addc_co_u32_e32 v1, vcc, v2, v1, vcc
	v_or_b32_e32 v2, 0x1100, v33
	v_mov_b32_e32 v3, v34
	v_lshlrev_b64 v[2:3], 2, v[2:3]
	v_mov_b32_e32 v4, s3
	v_add_co_u32_e32 v2, vcc, s2, v2
	v_addc_co_u32_e32 v3, vcc, v4, v3, vcc
	;; [unrolled: 6-line block ×3, first 2 shown]
	v_or_b32_e32 v6, 0x1300, v33
	v_mov_b32_e32 v7, v34
	v_lshlrev_b64 v[6:7], 2, v[6:7]
	v_add_co_u32_e32 v6, vcc, s2, v6
	v_addc_co_u32_e32 v7, vcc, v8, v7, vcc
	s_waitcnt vmcnt(16)
	global_store_dword v[0:1], v29, off
	global_store_dword v[2:3], v30, off
	;; [unrolled: 1-line block ×4, first 2 shown]
	v_or_b32_e32 v0, 0x1400, v33
	v_mov_b32_e32 v1, v34
	v_lshlrev_b64 v[0:1], 2, v[0:1]
	v_mov_b32_e32 v2, s3
	v_add_co_u32_e32 v0, vcc, s2, v0
	v_addc_co_u32_e32 v1, vcc, v2, v1, vcc
	global_store_dword v[0:1], v25, off
	v_or_b32_e32 v0, 0x1500, v33
	v_mov_b32_e32 v1, v34
	v_lshlrev_b64 v[0:1], 2, v[0:1]
	v_add_co_u32_e32 v0, vcc, s2, v0
	v_addc_co_u32_e32 v1, vcc, v2, v1, vcc
	global_store_dword v[0:1], v26, off
	v_or_b32_e32 v0, 0x1600, v33
	v_mov_b32_e32 v1, v34
	v_lshlrev_b64 v[0:1], 2, v[0:1]
	;; [unrolled: 6-line block ×10, first 2 shown]
	v_or_b32_e32 v33, 0x1f00, v33
	v_add_co_u32_e32 v0, vcc, s2, v0
	v_addc_co_u32_e32 v1, vcc, v2, v1, vcc
	global_store_dword v[0:1], v19, off
	v_lshlrev_b64 v[0:1], 2, v[33:34]
	v_add_co_u32_e32 v0, vcc, s2, v0
	v_addc_co_u32_e32 v1, vcc, v2, v1, vcc
	global_store_dword v[0:1], v20, off
	s_endpgm
	.section	.rodata,"a",@progbits
	.p2align	6, 0x0
	.amdhsa_kernel _Z16warp_load_kernelILj256ELj32ELj32ELN6hipcub17WarpLoadAlgorithmE2EiEvPT3_S3_
		.amdhsa_group_segment_fixed_size 0
		.amdhsa_private_segment_fixed_size 0
		.amdhsa_kernarg_size 16
		.amdhsa_user_sgpr_count 6
		.amdhsa_user_sgpr_private_segment_buffer 1
		.amdhsa_user_sgpr_dispatch_ptr 0
		.amdhsa_user_sgpr_queue_ptr 0
		.amdhsa_user_sgpr_kernarg_segment_ptr 1
		.amdhsa_user_sgpr_dispatch_id 0
		.amdhsa_user_sgpr_flat_scratch_init 0
		.amdhsa_user_sgpr_private_segment_size 0
		.amdhsa_uses_dynamic_stack 0
		.amdhsa_system_sgpr_private_segment_wavefront_offset 0
		.amdhsa_system_sgpr_workgroup_id_x 1
		.amdhsa_system_sgpr_workgroup_id_y 0
		.amdhsa_system_sgpr_workgroup_id_z 0
		.amdhsa_system_sgpr_workgroup_info 0
		.amdhsa_system_vgpr_workitem_id 0
		.amdhsa_next_free_vgpr 39
		.amdhsa_next_free_sgpr 7
		.amdhsa_reserve_vcc 1
		.amdhsa_reserve_flat_scratch 0
		.amdhsa_float_round_mode_32 0
		.amdhsa_float_round_mode_16_64 0
		.amdhsa_float_denorm_mode_32 3
		.amdhsa_float_denorm_mode_16_64 3
		.amdhsa_dx10_clamp 1
		.amdhsa_ieee_mode 1
		.amdhsa_fp16_overflow 0
		.amdhsa_exception_fp_ieee_invalid_op 0
		.amdhsa_exception_fp_denorm_src 0
		.amdhsa_exception_fp_ieee_div_zero 0
		.amdhsa_exception_fp_ieee_overflow 0
		.amdhsa_exception_fp_ieee_underflow 0
		.amdhsa_exception_fp_ieee_inexact 0
		.amdhsa_exception_int_div_zero 0
	.end_amdhsa_kernel
	.section	.text._Z16warp_load_kernelILj256ELj32ELj32ELN6hipcub17WarpLoadAlgorithmE2EiEvPT3_S3_,"axG",@progbits,_Z16warp_load_kernelILj256ELj32ELj32ELN6hipcub17WarpLoadAlgorithmE2EiEvPT3_S3_,comdat
.Lfunc_end14:
	.size	_Z16warp_load_kernelILj256ELj32ELj32ELN6hipcub17WarpLoadAlgorithmE2EiEvPT3_S3_, .Lfunc_end14-_Z16warp_load_kernelILj256ELj32ELj32ELN6hipcub17WarpLoadAlgorithmE2EiEvPT3_S3_
                                        ; -- End function
	.set _Z16warp_load_kernelILj256ELj32ELj32ELN6hipcub17WarpLoadAlgorithmE2EiEvPT3_S3_.num_vgpr, 39
	.set _Z16warp_load_kernelILj256ELj32ELj32ELN6hipcub17WarpLoadAlgorithmE2EiEvPT3_S3_.num_agpr, 0
	.set _Z16warp_load_kernelILj256ELj32ELj32ELN6hipcub17WarpLoadAlgorithmE2EiEvPT3_S3_.numbered_sgpr, 7
	.set _Z16warp_load_kernelILj256ELj32ELj32ELN6hipcub17WarpLoadAlgorithmE2EiEvPT3_S3_.num_named_barrier, 0
	.set _Z16warp_load_kernelILj256ELj32ELj32ELN6hipcub17WarpLoadAlgorithmE2EiEvPT3_S3_.private_seg_size, 0
	.set _Z16warp_load_kernelILj256ELj32ELj32ELN6hipcub17WarpLoadAlgorithmE2EiEvPT3_S3_.uses_vcc, 1
	.set _Z16warp_load_kernelILj256ELj32ELj32ELN6hipcub17WarpLoadAlgorithmE2EiEvPT3_S3_.uses_flat_scratch, 0
	.set _Z16warp_load_kernelILj256ELj32ELj32ELN6hipcub17WarpLoadAlgorithmE2EiEvPT3_S3_.has_dyn_sized_stack, 0
	.set _Z16warp_load_kernelILj256ELj32ELj32ELN6hipcub17WarpLoadAlgorithmE2EiEvPT3_S3_.has_recursion, 0
	.set _Z16warp_load_kernelILj256ELj32ELj32ELN6hipcub17WarpLoadAlgorithmE2EiEvPT3_S3_.has_indirect_call, 0
	.section	.AMDGPU.csdata,"",@progbits
; Kernel info:
; codeLenInByte = 1288
; TotalNumSgprs: 11
; NumVgprs: 39
; ScratchSize: 0
; MemoryBound: 0
; FloatMode: 240
; IeeeMode: 1
; LDSByteSize: 0 bytes/workgroup (compile time only)
; SGPRBlocks: 1
; VGPRBlocks: 9
; NumSGPRsForWavesPerEU: 11
; NumVGPRsForWavesPerEU: 39
; Occupancy: 6
; WaveLimiterHint : 1
; COMPUTE_PGM_RSRC2:SCRATCH_EN: 0
; COMPUTE_PGM_RSRC2:USER_SGPR: 6
; COMPUTE_PGM_RSRC2:TRAP_HANDLER: 0
; COMPUTE_PGM_RSRC2:TGID_X_EN: 1
; COMPUTE_PGM_RSRC2:TGID_Y_EN: 0
; COMPUTE_PGM_RSRC2:TGID_Z_EN: 0
; COMPUTE_PGM_RSRC2:TIDIG_COMP_CNT: 0
	.section	.text._Z16warp_load_kernelILj256ELj32ELj32ELN6hipcub17WarpLoadAlgorithmE3EiEvPT3_S3_,"axG",@progbits,_Z16warp_load_kernelILj256ELj32ELj32ELN6hipcub17WarpLoadAlgorithmE3EiEvPT3_S3_,comdat
	.protected	_Z16warp_load_kernelILj256ELj32ELj32ELN6hipcub17WarpLoadAlgorithmE3EiEvPT3_S3_ ; -- Begin function _Z16warp_load_kernelILj256ELj32ELj32ELN6hipcub17WarpLoadAlgorithmE3EiEvPT3_S3_
	.globl	_Z16warp_load_kernelILj256ELj32ELj32ELN6hipcub17WarpLoadAlgorithmE3EiEvPT3_S3_
	.p2align	8
	.type	_Z16warp_load_kernelILj256ELj32ELj32ELN6hipcub17WarpLoadAlgorithmE3EiEvPT3_S3_,@function
_Z16warp_load_kernelILj256ELj32ELj32ELN6hipcub17WarpLoadAlgorithmE3EiEvPT3_S3_: ; @_Z16warp_load_kernelILj256ELj32ELj32ELN6hipcub17WarpLoadAlgorithmE3EiEvPT3_S3_
; %bb.0:
	s_load_dwordx4 s[0:3], s[4:5], 0x0
	v_lshrrev_b32_e32 v3, 5, v0
	v_mbcnt_lo_u32_b32 v1, -1, 0
	s_lshl_b32 s4, s6, 13
	v_mbcnt_hi_u32_b32 v1, -1, v1
	v_lshl_or_b32 v32, v3, 10, s4
	v_mov_b32_e32 v33, 0
	v_and_b32_e32 v4, 31, v1
	v_lshlrev_b64 v[1:2], 2, v[32:33]
	s_waitcnt lgkmcnt(0)
	v_mov_b32_e32 v5, s1
	v_add_co_u32_e32 v1, vcc, s0, v1
	v_addc_co_u32_e32 v2, vcc, v5, v2, vcc
	v_lshlrev_b32_e32 v5, 2, v4
	v_add_co_u32_e32 v1, vcc, v1, v5
	v_addc_co_u32_e32 v2, vcc, 0, v2, vcc
	global_load_dword v6, v[1:2], off
	global_load_dword v7, v[1:2], off offset:128
	global_load_dword v8, v[1:2], off offset:256
	;; [unrolled: 1-line block ×31, first 2 shown]
	v_lshlrev_b32_e32 v1, 12, v3
	v_or_b32_e32 v32, s4, v0
	v_lshl_or_b32 v42, v4, 7, v1
	v_or_b32_e32 v2, v1, v5
	v_lshlrev_b64 v[0:1], 2, v[32:33]
	v_add_u32_e32 v3, 0x400, v2
	v_add_u32_e32 v4, 0x800, v2
	;; [unrolled: 1-line block ×3, first 2 shown]
	v_mov_b32_e32 v35, s3
	v_add_co_u32_e32 v34, vcc, s2, v0
	v_addc_co_u32_e32 v35, vcc, v35, v1, vcc
	s_waitcnt vmcnt(30)
	ds_write2_b32 v2, v6, v7 offset1:32
	s_waitcnt vmcnt(28)
	ds_write2_b32 v2, v8, v9 offset0:64 offset1:96
	s_waitcnt vmcnt(26)
	ds_write2_b32 v2, v10, v11 offset0:128 offset1:160
	s_waitcnt vmcnt(24)
	ds_write2_b32 v2, v12, v13 offset0:192 offset1:224
	s_waitcnt vmcnt(22)
	ds_write2_b32 v3, v14, v15 offset1:32
	s_waitcnt vmcnt(20)
	ds_write2_b32 v3, v16, v17 offset0:64 offset1:96
	s_waitcnt vmcnt(18)
	ds_write2_b32 v3, v18, v19 offset0:128 offset1:160
	s_waitcnt vmcnt(16)
	ds_write2_b32 v3, v20, v21 offset0:192 offset1:224
	;; [unrolled: 8-line block ×4, first 2 shown]
	; wave barrier
	ds_read_b128 v[0:3], v42
	ds_read_b128 v[4:7], v42 offset:16
	ds_read_b128 v[8:11], v42 offset:32
	;; [unrolled: 1-line block ×7, first 2 shown]
	s_waitcnt lgkmcnt(7)
	global_store_dword v[34:35], v0, off
	global_store_dword v[34:35], v1, off offset:1024
	global_store_dword v[34:35], v2, off offset:2048
	;; [unrolled: 1-line block ×3, first 2 shown]
	v_or_b32_e32 v0, 0x400, v32
	v_mov_b32_e32 v1, v33
	v_lshlrev_b64 v[0:1], 2, v[0:1]
	v_mov_b32_e32 v2, s3
	v_add_co_u32_e32 v0, vcc, s2, v0
	v_addc_co_u32_e32 v1, vcc, v2, v1, vcc
	s_waitcnt lgkmcnt(6)
	global_store_dword v[0:1], v4, off
	v_or_b32_e32 v0, 0x500, v32
	v_mov_b32_e32 v1, v33
	v_lshlrev_b64 v[0:1], 2, v[0:1]
	v_add_co_u32_e32 v0, vcc, s2, v0
	v_addc_co_u32_e32 v1, vcc, v2, v1, vcc
	global_store_dword v[0:1], v5, off
	v_or_b32_e32 v0, 0x600, v32
	v_mov_b32_e32 v1, v33
	v_lshlrev_b64 v[0:1], 2, v[0:1]
	v_add_co_u32_e32 v0, vcc, s2, v0
	v_addc_co_u32_e32 v1, vcc, v2, v1, vcc
	global_store_dword v[0:1], v6, off
	v_or_b32_e32 v0, 0x700, v32
	v_mov_b32_e32 v1, v33
	v_lshlrev_b64 v[0:1], 2, v[0:1]
	v_add_co_u32_e32 v0, vcc, s2, v0
	v_addc_co_u32_e32 v1, vcc, v2, v1, vcc
	global_store_dword v[0:1], v7, off
	v_or_b32_e32 v0, 0x800, v32
	v_mov_b32_e32 v1, v33
	v_lshlrev_b64 v[0:1], 2, v[0:1]
	v_add_co_u32_e32 v0, vcc, s2, v0
	v_addc_co_u32_e32 v1, vcc, v2, v1, vcc
	s_waitcnt lgkmcnt(5)
	global_store_dword v[0:1], v8, off
	v_or_b32_e32 v0, 0x900, v32
	v_mov_b32_e32 v1, v33
	v_lshlrev_b64 v[0:1], 2, v[0:1]
	v_add_co_u32_e32 v0, vcc, s2, v0
	v_addc_co_u32_e32 v1, vcc, v2, v1, vcc
	global_store_dword v[0:1], v9, off
	v_or_b32_e32 v0, 0xa00, v32
	v_mov_b32_e32 v1, v33
	v_lshlrev_b64 v[0:1], 2, v[0:1]
	v_add_co_u32_e32 v0, vcc, s2, v0
	v_addc_co_u32_e32 v1, vcc, v2, v1, vcc
	global_store_dword v[0:1], v10, off
	v_or_b32_e32 v0, 0xb00, v32
	v_mov_b32_e32 v1, v33
	v_lshlrev_b64 v[0:1], 2, v[0:1]
	v_add_co_u32_e32 v0, vcc, s2, v0
	v_addc_co_u32_e32 v1, vcc, v2, v1, vcc
	global_store_dword v[0:1], v11, off
	v_or_b32_e32 v0, 0xc00, v32
	v_mov_b32_e32 v1, v33
	v_lshlrev_b64 v[0:1], 2, v[0:1]
	;; [unrolled: 25-line block ×6, first 2 shown]
	v_add_co_u32_e32 v0, vcc, s2, v0
	v_addc_co_u32_e32 v1, vcc, v2, v1, vcc
	s_waitcnt lgkmcnt(0)
	global_store_dword v[0:1], v28, off
	v_or_b32_e32 v0, 0x1d00, v32
	v_mov_b32_e32 v1, v33
	v_lshlrev_b64 v[0:1], 2, v[0:1]
	v_add_co_u32_e32 v0, vcc, s2, v0
	v_addc_co_u32_e32 v1, vcc, v2, v1, vcc
	global_store_dword v[0:1], v29, off
	v_or_b32_e32 v0, 0x1e00, v32
	v_mov_b32_e32 v1, v33
	v_lshlrev_b64 v[0:1], 2, v[0:1]
	v_or_b32_e32 v32, 0x1f00, v32
	v_add_co_u32_e32 v0, vcc, s2, v0
	v_addc_co_u32_e32 v1, vcc, v2, v1, vcc
	global_store_dword v[0:1], v30, off
	v_lshlrev_b64 v[0:1], 2, v[32:33]
	v_add_co_u32_e32 v0, vcc, s2, v0
	v_addc_co_u32_e32 v1, vcc, v2, v1, vcc
	global_store_dword v[0:1], v31, off
	s_endpgm
	.section	.rodata,"a",@progbits
	.p2align	6, 0x0
	.amdhsa_kernel _Z16warp_load_kernelILj256ELj32ELj32ELN6hipcub17WarpLoadAlgorithmE3EiEvPT3_S3_
		.amdhsa_group_segment_fixed_size 32768
		.amdhsa_private_segment_fixed_size 0
		.amdhsa_kernarg_size 16
		.amdhsa_user_sgpr_count 6
		.amdhsa_user_sgpr_private_segment_buffer 1
		.amdhsa_user_sgpr_dispatch_ptr 0
		.amdhsa_user_sgpr_queue_ptr 0
		.amdhsa_user_sgpr_kernarg_segment_ptr 1
		.amdhsa_user_sgpr_dispatch_id 0
		.amdhsa_user_sgpr_flat_scratch_init 0
		.amdhsa_user_sgpr_private_segment_size 0
		.amdhsa_uses_dynamic_stack 0
		.amdhsa_system_sgpr_private_segment_wavefront_offset 0
		.amdhsa_system_sgpr_workgroup_id_x 1
		.amdhsa_system_sgpr_workgroup_id_y 0
		.amdhsa_system_sgpr_workgroup_id_z 0
		.amdhsa_system_sgpr_workgroup_info 0
		.amdhsa_system_vgpr_workitem_id 0
		.amdhsa_next_free_vgpr 85
		.amdhsa_next_free_sgpr 98
		.amdhsa_reserve_vcc 1
		.amdhsa_reserve_flat_scratch 0
		.amdhsa_float_round_mode_32 0
		.amdhsa_float_round_mode_16_64 0
		.amdhsa_float_denorm_mode_32 3
		.amdhsa_float_denorm_mode_16_64 3
		.amdhsa_dx10_clamp 1
		.amdhsa_ieee_mode 1
		.amdhsa_fp16_overflow 0
		.amdhsa_exception_fp_ieee_invalid_op 0
		.amdhsa_exception_fp_denorm_src 0
		.amdhsa_exception_fp_ieee_div_zero 0
		.amdhsa_exception_fp_ieee_overflow 0
		.amdhsa_exception_fp_ieee_underflow 0
		.amdhsa_exception_fp_ieee_inexact 0
		.amdhsa_exception_int_div_zero 0
	.end_amdhsa_kernel
	.section	.text._Z16warp_load_kernelILj256ELj32ELj32ELN6hipcub17WarpLoadAlgorithmE3EiEvPT3_S3_,"axG",@progbits,_Z16warp_load_kernelILj256ELj32ELj32ELN6hipcub17WarpLoadAlgorithmE3EiEvPT3_S3_,comdat
.Lfunc_end15:
	.size	_Z16warp_load_kernelILj256ELj32ELj32ELN6hipcub17WarpLoadAlgorithmE3EiEvPT3_S3_, .Lfunc_end15-_Z16warp_load_kernelILj256ELj32ELj32ELN6hipcub17WarpLoadAlgorithmE3EiEvPT3_S3_
                                        ; -- End function
	.set _Z16warp_load_kernelILj256ELj32ELj32ELN6hipcub17WarpLoadAlgorithmE3EiEvPT3_S3_.num_vgpr, 43
	.set _Z16warp_load_kernelILj256ELj32ELj32ELN6hipcub17WarpLoadAlgorithmE3EiEvPT3_S3_.num_agpr, 0
	.set _Z16warp_load_kernelILj256ELj32ELj32ELN6hipcub17WarpLoadAlgorithmE3EiEvPT3_S3_.numbered_sgpr, 7
	.set _Z16warp_load_kernelILj256ELj32ELj32ELN6hipcub17WarpLoadAlgorithmE3EiEvPT3_S3_.num_named_barrier, 0
	.set _Z16warp_load_kernelILj256ELj32ELj32ELN6hipcub17WarpLoadAlgorithmE3EiEvPT3_S3_.private_seg_size, 0
	.set _Z16warp_load_kernelILj256ELj32ELj32ELN6hipcub17WarpLoadAlgorithmE3EiEvPT3_S3_.uses_vcc, 1
	.set _Z16warp_load_kernelILj256ELj32ELj32ELN6hipcub17WarpLoadAlgorithmE3EiEvPT3_S3_.uses_flat_scratch, 0
	.set _Z16warp_load_kernelILj256ELj32ELj32ELN6hipcub17WarpLoadAlgorithmE3EiEvPT3_S3_.has_dyn_sized_stack, 0
	.set _Z16warp_load_kernelILj256ELj32ELj32ELN6hipcub17WarpLoadAlgorithmE3EiEvPT3_S3_.has_recursion, 0
	.set _Z16warp_load_kernelILj256ELj32ELj32ELN6hipcub17WarpLoadAlgorithmE3EiEvPT3_S3_.has_indirect_call, 0
	.section	.AMDGPU.csdata,"",@progbits
; Kernel info:
; codeLenInByte = 1736
; TotalNumSgprs: 11
; NumVgprs: 43
; ScratchSize: 0
; MemoryBound: 1
; FloatMode: 240
; IeeeMode: 1
; LDSByteSize: 32768 bytes/workgroup (compile time only)
; SGPRBlocks: 12
; VGPRBlocks: 21
; NumSGPRsForWavesPerEU: 102
; NumVGPRsForWavesPerEU: 85
; Occupancy: 2
; WaveLimiterHint : 1
; COMPUTE_PGM_RSRC2:SCRATCH_EN: 0
; COMPUTE_PGM_RSRC2:USER_SGPR: 6
; COMPUTE_PGM_RSRC2:TRAP_HANDLER: 0
; COMPUTE_PGM_RSRC2:TGID_X_EN: 1
; COMPUTE_PGM_RSRC2:TGID_Y_EN: 0
; COMPUTE_PGM_RSRC2:TGID_Z_EN: 0
; COMPUTE_PGM_RSRC2:TIDIG_COMP_CNT: 0
	.section	.text._Z16warp_load_kernelILj256ELj64ELj32ELN6hipcub17WarpLoadAlgorithmE0EiEvPT3_S3_,"axG",@progbits,_Z16warp_load_kernelILj256ELj64ELj32ELN6hipcub17WarpLoadAlgorithmE0EiEvPT3_S3_,comdat
	.protected	_Z16warp_load_kernelILj256ELj64ELj32ELN6hipcub17WarpLoadAlgorithmE0EiEvPT3_S3_ ; -- Begin function _Z16warp_load_kernelILj256ELj64ELj32ELN6hipcub17WarpLoadAlgorithmE0EiEvPT3_S3_
	.globl	_Z16warp_load_kernelILj256ELj64ELj32ELN6hipcub17WarpLoadAlgorithmE0EiEvPT3_S3_
	.p2align	8
	.type	_Z16warp_load_kernelILj256ELj64ELj32ELN6hipcub17WarpLoadAlgorithmE0EiEvPT3_S3_,@function
_Z16warp_load_kernelILj256ELj64ELj32ELN6hipcub17WarpLoadAlgorithmE0EiEvPT3_S3_: ; @_Z16warp_load_kernelILj256ELj64ELj32ELN6hipcub17WarpLoadAlgorithmE0EiEvPT3_S3_
; %bb.0:
	v_mbcnt_lo_u32_b32 v1, -1, 0
	s_load_dwordx4 s[0:3], s[4:5], 0x0
	v_mbcnt_hi_u32_b32 v3, -1, v1
	v_lshlrev_b32_e32 v1, 6, v0
	s_lshl_b32 s4, s6, 14
	v_and_b32_e32 v1, 0x3800, v1
	v_or_b32_e32 v16, s4, v1
	v_mov_b32_e32 v17, 0
	v_lshlrev_b64 v[1:2], 2, v[16:17]
	s_waitcnt lgkmcnt(0)
	v_mov_b32_e32 v4, s1
	v_add_co_u32_e32 v1, vcc, s0, v1
	v_lshlrev_b32_e32 v3, 8, v3
	v_addc_co_u32_e32 v2, vcc, v4, v2, vcc
	v_and_b32_e32 v3, 0x1f00, v3
	v_add_co_u32_e32 v66, vcc, v1, v3
	v_addc_co_u32_e32 v67, vcc, 0, v2, vcc
	global_load_dwordx4 v[18:21], v[66:67], off
	global_load_dwordx4 v[22:25], v[66:67], off offset:16
	global_load_dwordx4 v[26:29], v[66:67], off offset:48
	global_load_dwordx4 v[30:33], v[66:67], off offset:32
	v_or_b32_e32 v16, s4, v0
	v_lshlrev_b64 v[10:11], 2, v[16:17]
	v_mov_b32_e32 v1, v17
	v_or_b32_e32 v0, 0x400, v16
	v_mov_b32_e32 v12, s3
	v_lshlrev_b64 v[0:1], 2, v[0:1]
	v_add_co_u32_e32 v70, vcc, s2, v10
	v_mov_b32_e32 v3, v17
	v_or_b32_e32 v2, 0x500, v16
	v_addc_co_u32_e32 v71, vcc, v12, v11, vcc
	v_mov_b32_e32 v13, s3
	v_lshlrev_b64 v[2:3], 2, v[2:3]
	v_add_co_u32_e32 v72, vcc, s2, v0
	v_mov_b32_e32 v5, v17
	v_or_b32_e32 v4, 0x600, v16
	v_addc_co_u32_e32 v73, vcc, v13, v1, vcc
	v_mov_b32_e32 v14, s3
	v_lshlrev_b64 v[4:5], 2, v[4:5]
	v_add_co_u32_e32 v74, vcc, s2, v2
	v_mov_b32_e32 v7, v17
	v_or_b32_e32 v6, 0x700, v16
	v_addc_co_u32_e32 v75, vcc, v14, v3, vcc
	v_mov_b32_e32 v15, s3
	v_lshlrev_b64 v[6:7], 2, v[6:7]
	v_add_co_u32_e32 v76, vcc, s2, v4
	v_addc_co_u32_e32 v77, vcc, v15, v5, vcc
	v_mov_b32_e32 v9, v17
	v_or_b32_e32 v8, 0x800, v16
	v_mov_b32_e32 v34, s3
	v_add_co_u32_e32 v78, vcc, s2, v6
	v_lshlrev_b64 v[68:69], 2, v[8:9]
	v_addc_co_u32_e32 v79, vcc, v34, v7, vcc
	global_load_dwordx4 v[34:37], v[66:67], off offset:112
	global_load_dwordx4 v[38:41], v[66:67], off offset:96
	;; [unrolled: 1-line block ×12, first 2 shown]
	v_mov_b32_e32 v80, s3
	v_mov_b32_e32 v66, s3
	s_waitcnt vmcnt(15)
	global_store_dword v[70:71], v18, off
	global_store_dword v[70:71], v19, off offset:1024
	global_store_dword v[70:71], v20, off offset:2048
	;; [unrolled: 1-line block ×3, first 2 shown]
	s_waitcnt vmcnt(18)
	global_store_dword v[72:73], v22, off
	global_store_dword v[74:75], v23, off
	;; [unrolled: 1-line block ×4, first 2 shown]
	v_or_b32_e32 v20, 0x900, v16
	v_mov_b32_e32 v21, v17
	v_add_co_u32_e32 v18, vcc, s2, v68
	v_lshlrev_b64 v[20:21], 2, v[20:21]
	v_addc_co_u32_e32 v19, vcc, v80, v69, vcc
	v_mov_b32_e32 v22, s3
	v_add_co_u32_e32 v20, vcc, s2, v20
	v_addc_co_u32_e32 v21, vcc, v22, v21, vcc
	v_or_b32_e32 v22, 0xa00, v16
	v_mov_b32_e32 v23, v17
	v_lshlrev_b64 v[22:23], 2, v[22:23]
	v_mov_b32_e32 v24, s3
	v_add_co_u32_e32 v22, vcc, s2, v22
	v_addc_co_u32_e32 v23, vcc, v24, v23, vcc
	v_or_b32_e32 v24, 0xb00, v16
	v_mov_b32_e32 v25, v17
	v_lshlrev_b64 v[24:25], 2, v[24:25]
	v_add_co_u32_e32 v24, vcc, s2, v24
	v_addc_co_u32_e32 v25, vcc, v66, v25, vcc
	s_waitcnt vmcnt(20)
	global_store_dword v[18:19], v30, off
	global_store_dword v[20:21], v31, off
	;; [unrolled: 1-line block ×4, first 2 shown]
	v_or_b32_e32 v18, 0xc00, v16
	v_mov_b32_e32 v19, v17
	v_lshlrev_b64 v[18:19], 2, v[18:19]
	v_mov_b32_e32 v20, s3
	v_add_co_u32_e32 v18, vcc, s2, v18
	v_addc_co_u32_e32 v19, vcc, v20, v19, vcc
	v_or_b32_e32 v20, 0xd00, v16
	v_mov_b32_e32 v21, v17
	v_lshlrev_b64 v[20:21], 2, v[20:21]
	v_mov_b32_e32 v22, s3
	v_add_co_u32_e32 v20, vcc, s2, v20
	v_addc_co_u32_e32 v21, vcc, v22, v21, vcc
	;; [unrolled: 6-line block ×4, first 2 shown]
	global_store_dword v[18:19], v26, off
	global_store_dword v[20:21], v27, off
	;; [unrolled: 1-line block ×4, first 2 shown]
	v_or_b32_e32 v18, 0x1000, v16
	v_mov_b32_e32 v19, v17
	v_lshlrev_b64 v[18:19], 2, v[18:19]
	v_mov_b32_e32 v20, s3
	v_add_co_u32_e32 v18, vcc, s2, v18
	v_addc_co_u32_e32 v19, vcc, v20, v19, vcc
	v_or_b32_e32 v20, 0x1100, v16
	v_mov_b32_e32 v21, v17
	v_lshlrev_b64 v[20:21], 2, v[20:21]
	v_mov_b32_e32 v22, s3
	v_add_co_u32_e32 v20, vcc, s2, v20
	v_addc_co_u32_e32 v21, vcc, v22, v21, vcc
	;; [unrolled: 6-line block ×4, first 2 shown]
	s_waitcnt vmcnt(24)
	global_store_dword v[18:19], v46, off
	global_store_dword v[20:21], v47, off
	global_store_dword v[22:23], v48, off
	global_store_dword v[24:25], v49, off
	v_or_b32_e32 v18, 0x1400, v16
	v_mov_b32_e32 v19, v17
	v_lshlrev_b64 v[18:19], 2, v[18:19]
	v_mov_b32_e32 v20, s3
	v_add_co_u32_e32 v18, vcc, s2, v18
	v_addc_co_u32_e32 v19, vcc, v20, v19, vcc
	v_or_b32_e32 v20, 0x1500, v16
	v_mov_b32_e32 v21, v17
	v_lshlrev_b64 v[20:21], 2, v[20:21]
	v_mov_b32_e32 v22, s3
	v_add_co_u32_e32 v20, vcc, s2, v20
	v_addc_co_u32_e32 v21, vcc, v22, v21, vcc
	v_or_b32_e32 v22, 0x1600, v16
	v_mov_b32_e32 v23, v17
	v_lshlrev_b64 v[22:23], 2, v[22:23]
	v_mov_b32_e32 v24, s3
	v_add_co_u32_e32 v22, vcc, s2, v22
	v_addc_co_u32_e32 v23, vcc, v24, v23, vcc
	v_or_b32_e32 v24, 0x1700, v16
	v_mov_b32_e32 v25, v17
	v_lshlrev_b64 v[24:25], 2, v[24:25]
	v_add_co_u32_e32 v24, vcc, s2, v24
	v_addc_co_u32_e32 v25, vcc, v26, v25, vcc
	global_store_dword v[18:19], v42, off
	global_store_dword v[20:21], v43, off
	global_store_dword v[22:23], v44, off
	global_store_dword v[24:25], v45, off
	v_or_b32_e32 v18, 0x1800, v16
	v_mov_b32_e32 v19, v17
	v_lshlrev_b64 v[18:19], 2, v[18:19]
	v_mov_b32_e32 v20, s3
	v_add_co_u32_e32 v18, vcc, s2, v18
	v_addc_co_u32_e32 v19, vcc, v20, v19, vcc
	v_or_b32_e32 v20, 0x1900, v16
	v_mov_b32_e32 v21, v17
	v_lshlrev_b64 v[20:21], 2, v[20:21]
	v_mov_b32_e32 v22, s3
	v_add_co_u32_e32 v20, vcc, s2, v20
	v_addc_co_u32_e32 v21, vcc, v22, v21, vcc
	v_or_b32_e32 v22, 0x1a00, v16
	v_mov_b32_e32 v23, v17
	v_lshlrev_b64 v[22:23], 2, v[22:23]
	v_mov_b32_e32 v24, s3
	v_add_co_u32_e32 v22, vcc, s2, v22
	v_addc_co_u32_e32 v23, vcc, v24, v23, vcc
	v_or_b32_e32 v24, 0x1b00, v16
	v_mov_b32_e32 v25, v17
	v_lshlrev_b64 v[24:25], 2, v[24:25]
	v_add_co_u32_e32 v24, vcc, s2, v24
	v_addc_co_u32_e32 v25, vcc, v26, v25, vcc
	;; [unrolled: 27-line block ×4, first 2 shown]
	s_waitcnt vmcnt(36)
	global_store_dword v[18:19], v62, off
	global_store_dword v[20:21], v63, off
	global_store_dword v[22:23], v64, off
	global_store_dword v[24:25], v65, off
	v_or_b32_e32 v18, 0x2400, v16
	v_mov_b32_e32 v19, v17
	v_lshlrev_b64 v[18:19], 2, v[18:19]
	v_mov_b32_e32 v20, s3
	v_add_co_u32_e32 v18, vcc, s2, v18
	v_addc_co_u32_e32 v19, vcc, v20, v19, vcc
	v_or_b32_e32 v20, 0x2500, v16
	v_mov_b32_e32 v21, v17
	v_lshlrev_b64 v[20:21], 2, v[20:21]
	v_mov_b32_e32 v22, s3
	v_add_co_u32_e32 v20, vcc, s2, v20
	v_addc_co_u32_e32 v21, vcc, v22, v21, vcc
	v_or_b32_e32 v22, 0x2600, v16
	v_mov_b32_e32 v23, v17
	v_lshlrev_b64 v[22:23], 2, v[22:23]
	v_mov_b32_e32 v24, s3
	v_add_co_u32_e32 v22, vcc, s2, v22
	v_addc_co_u32_e32 v23, vcc, v24, v23, vcc
	v_or_b32_e32 v24, 0x2700, v16
	v_mov_b32_e32 v25, v17
	v_lshlrev_b64 v[24:25], 2, v[24:25]
	v_add_co_u32_e32 v24, vcc, s2, v24
	v_addc_co_u32_e32 v25, vcc, v26, v25, vcc
	global_store_dword v[18:19], v58, off
	global_store_dword v[20:21], v59, off
	global_store_dword v[22:23], v60, off
	global_store_dword v[24:25], v61, off
	v_or_b32_e32 v18, 0x2800, v16
	v_mov_b32_e32 v19, v17
	v_lshlrev_b64 v[18:19], 2, v[18:19]
	v_mov_b32_e32 v20, s3
	v_add_co_u32_e32 v18, vcc, s2, v18
	v_addc_co_u32_e32 v19, vcc, v20, v19, vcc
	v_or_b32_e32 v20, 0x2900, v16
	v_mov_b32_e32 v21, v17
	v_lshlrev_b64 v[20:21], 2, v[20:21]
	v_mov_b32_e32 v22, s3
	v_add_co_u32_e32 v20, vcc, s2, v20
	v_addc_co_u32_e32 v21, vcc, v22, v21, vcc
	v_or_b32_e32 v22, 0x2a00, v16
	v_mov_b32_e32 v23, v17
	v_lshlrev_b64 v[22:23], 2, v[22:23]
	v_mov_b32_e32 v24, s3
	v_add_co_u32_e32 v22, vcc, s2, v22
	v_addc_co_u32_e32 v23, vcc, v24, v23, vcc
	v_or_b32_e32 v24, 0x2b00, v16
	v_mov_b32_e32 v25, v17
	v_lshlrev_b64 v[24:25], 2, v[24:25]
	v_add_co_u32_e32 v24, vcc, s2, v24
	v_addc_co_u32_e32 v25, vcc, v26, v25, vcc
	;; [unrolled: 27-line block ×4, first 2 shown]
	s_waitcnt vmcnt(48)
	global_store_dword v[18:19], v12, off
	global_store_dword v[20:21], v13, off
	;; [unrolled: 1-line block ×4, first 2 shown]
	v_or_b32_e32 v12, 0x3400, v16
	v_mov_b32_e32 v13, v17
	v_lshlrev_b64 v[12:13], 2, v[12:13]
	v_mov_b32_e32 v14, s3
	v_add_co_u32_e32 v12, vcc, s2, v12
	v_addc_co_u32_e32 v13, vcc, v14, v13, vcc
	global_store_dword v[12:13], v8, off
	v_or_b32_e32 v12, 0x3500, v16
	v_mov_b32_e32 v13, v17
	v_lshlrev_b64 v[12:13], 2, v[12:13]
	v_mov_b32_e32 v8, s3
	v_add_co_u32_e32 v12, vcc, s2, v12
	v_addc_co_u32_e32 v13, vcc, v8, v13, vcc
	global_store_dword v[12:13], v9, off
	;; [unrolled: 7-line block ×4, first 2 shown]
	v_or_b32_e32 v8, 0x3800, v16
	v_mov_b32_e32 v9, v17
	v_lshlrev_b64 v[8:9], 2, v[8:9]
	v_add_co_u32_e32 v8, vcc, s2, v8
	v_addc_co_u32_e32 v9, vcc, v10, v9, vcc
	global_store_dword v[8:9], v4, off
	v_or_b32_e32 v8, 0x3900, v16
	v_mov_b32_e32 v9, v17
	v_lshlrev_b64 v[8:9], 2, v[8:9]
	v_mov_b32_e32 v4, s3
	v_add_co_u32_e32 v8, vcc, s2, v8
	v_addc_co_u32_e32 v9, vcc, v4, v9, vcc
	global_store_dword v[8:9], v5, off
	v_or_b32_e32 v4, 0x3a00, v16
	v_mov_b32_e32 v5, v17
	v_lshlrev_b64 v[4:5], 2, v[4:5]
	v_mov_b32_e32 v8, s3
	;; [unrolled: 7-line block ×3, first 2 shown]
	v_add_co_u32_e32 v4, vcc, s2, v4
	v_addc_co_u32_e32 v5, vcc, v6, v5, vcc
	global_store_dword v[4:5], v7, off
	v_or_b32_e32 v4, 0x3c00, v16
	v_mov_b32_e32 v5, v17
	v_lshlrev_b64 v[4:5], 2, v[4:5]
	v_add_co_u32_e32 v4, vcc, s2, v4
	v_addc_co_u32_e32 v5, vcc, v6, v5, vcc
	global_store_dword v[4:5], v0, off
	v_or_b32_e32 v4, 0x3d00, v16
	v_mov_b32_e32 v5, v17
	v_lshlrev_b64 v[4:5], 2, v[4:5]
	v_mov_b32_e32 v0, s3
	v_add_co_u32_e32 v4, vcc, s2, v4
	v_addc_co_u32_e32 v5, vcc, v0, v5, vcc
	global_store_dword v[4:5], v1, off
	v_or_b32_e32 v0, 0x3e00, v16
	v_mov_b32_e32 v1, v17
	v_lshlrev_b64 v[0:1], 2, v[0:1]
	v_mov_b32_e32 v4, s3
	v_add_co_u32_e32 v0, vcc, s2, v0
	v_addc_co_u32_e32 v1, vcc, v4, v1, vcc
	v_or_b32_e32 v16, 0x3f00, v16
	global_store_dword v[0:1], v2, off
	v_lshlrev_b64 v[0:1], 2, v[16:17]
	v_mov_b32_e32 v2, s3
	v_add_co_u32_e32 v0, vcc, s2, v0
	v_addc_co_u32_e32 v1, vcc, v2, v1, vcc
	global_store_dword v[0:1], v3, off
	s_endpgm
	.section	.rodata,"a",@progbits
	.p2align	6, 0x0
	.amdhsa_kernel _Z16warp_load_kernelILj256ELj64ELj32ELN6hipcub17WarpLoadAlgorithmE0EiEvPT3_S3_
		.amdhsa_group_segment_fixed_size 0
		.amdhsa_private_segment_fixed_size 0
		.amdhsa_kernarg_size 16
		.amdhsa_user_sgpr_count 6
		.amdhsa_user_sgpr_private_segment_buffer 1
		.amdhsa_user_sgpr_dispatch_ptr 0
		.amdhsa_user_sgpr_queue_ptr 0
		.amdhsa_user_sgpr_kernarg_segment_ptr 1
		.amdhsa_user_sgpr_dispatch_id 0
		.amdhsa_user_sgpr_flat_scratch_init 0
		.amdhsa_user_sgpr_private_segment_size 0
		.amdhsa_uses_dynamic_stack 0
		.amdhsa_system_sgpr_private_segment_wavefront_offset 0
		.amdhsa_system_sgpr_workgroup_id_x 1
		.amdhsa_system_sgpr_workgroup_id_y 0
		.amdhsa_system_sgpr_workgroup_id_z 0
		.amdhsa_system_sgpr_workgroup_info 0
		.amdhsa_system_vgpr_workitem_id 0
		.amdhsa_next_free_vgpr 81
		.amdhsa_next_free_sgpr 7
		.amdhsa_reserve_vcc 1
		.amdhsa_reserve_flat_scratch 0
		.amdhsa_float_round_mode_32 0
		.amdhsa_float_round_mode_16_64 0
		.amdhsa_float_denorm_mode_32 3
		.amdhsa_float_denorm_mode_16_64 3
		.amdhsa_dx10_clamp 1
		.amdhsa_ieee_mode 1
		.amdhsa_fp16_overflow 0
		.amdhsa_exception_fp_ieee_invalid_op 0
		.amdhsa_exception_fp_denorm_src 0
		.amdhsa_exception_fp_ieee_div_zero 0
		.amdhsa_exception_fp_ieee_overflow 0
		.amdhsa_exception_fp_ieee_underflow 0
		.amdhsa_exception_fp_ieee_inexact 0
		.amdhsa_exception_int_div_zero 0
	.end_amdhsa_kernel
	.section	.text._Z16warp_load_kernelILj256ELj64ELj32ELN6hipcub17WarpLoadAlgorithmE0EiEvPT3_S3_,"axG",@progbits,_Z16warp_load_kernelILj256ELj64ELj32ELN6hipcub17WarpLoadAlgorithmE0EiEvPT3_S3_,comdat
.Lfunc_end16:
	.size	_Z16warp_load_kernelILj256ELj64ELj32ELN6hipcub17WarpLoadAlgorithmE0EiEvPT3_S3_, .Lfunc_end16-_Z16warp_load_kernelILj256ELj64ELj32ELN6hipcub17WarpLoadAlgorithmE0EiEvPT3_S3_
                                        ; -- End function
	.set _Z16warp_load_kernelILj256ELj64ELj32ELN6hipcub17WarpLoadAlgorithmE0EiEvPT3_S3_.num_vgpr, 81
	.set _Z16warp_load_kernelILj256ELj64ELj32ELN6hipcub17WarpLoadAlgorithmE0EiEvPT3_S3_.num_agpr, 0
	.set _Z16warp_load_kernelILj256ELj64ELj32ELN6hipcub17WarpLoadAlgorithmE0EiEvPT3_S3_.numbered_sgpr, 7
	.set _Z16warp_load_kernelILj256ELj64ELj32ELN6hipcub17WarpLoadAlgorithmE0EiEvPT3_S3_.num_named_barrier, 0
	.set _Z16warp_load_kernelILj256ELj64ELj32ELN6hipcub17WarpLoadAlgorithmE0EiEvPT3_S3_.private_seg_size, 0
	.set _Z16warp_load_kernelILj256ELj64ELj32ELN6hipcub17WarpLoadAlgorithmE0EiEvPT3_S3_.uses_vcc, 1
	.set _Z16warp_load_kernelILj256ELj64ELj32ELN6hipcub17WarpLoadAlgorithmE0EiEvPT3_S3_.uses_flat_scratch, 0
	.set _Z16warp_load_kernelILj256ELj64ELj32ELN6hipcub17WarpLoadAlgorithmE0EiEvPT3_S3_.has_dyn_sized_stack, 0
	.set _Z16warp_load_kernelILj256ELj64ELj32ELN6hipcub17WarpLoadAlgorithmE0EiEvPT3_S3_.has_recursion, 0
	.set _Z16warp_load_kernelILj256ELj64ELj32ELN6hipcub17WarpLoadAlgorithmE0EiEvPT3_S3_.has_indirect_call, 0
	.section	.AMDGPU.csdata,"",@progbits
; Kernel info:
; codeLenInByte = 2660
; TotalNumSgprs: 11
; NumVgprs: 81
; ScratchSize: 0
; MemoryBound: 0
; FloatMode: 240
; IeeeMode: 1
; LDSByteSize: 0 bytes/workgroup (compile time only)
; SGPRBlocks: 1
; VGPRBlocks: 20
; NumSGPRsForWavesPerEU: 11
; NumVGPRsForWavesPerEU: 81
; Occupancy: 3
; WaveLimiterHint : 1
; COMPUTE_PGM_RSRC2:SCRATCH_EN: 0
; COMPUTE_PGM_RSRC2:USER_SGPR: 6
; COMPUTE_PGM_RSRC2:TRAP_HANDLER: 0
; COMPUTE_PGM_RSRC2:TGID_X_EN: 1
; COMPUTE_PGM_RSRC2:TGID_Y_EN: 0
; COMPUTE_PGM_RSRC2:TGID_Z_EN: 0
; COMPUTE_PGM_RSRC2:TIDIG_COMP_CNT: 0
	.section	.text._Z16warp_load_kernelILj256ELj64ELj32ELN6hipcub17WarpLoadAlgorithmE1EiEvPT3_S3_,"axG",@progbits,_Z16warp_load_kernelILj256ELj64ELj32ELN6hipcub17WarpLoadAlgorithmE1EiEvPT3_S3_,comdat
	.protected	_Z16warp_load_kernelILj256ELj64ELj32ELN6hipcub17WarpLoadAlgorithmE1EiEvPT3_S3_ ; -- Begin function _Z16warp_load_kernelILj256ELj64ELj32ELN6hipcub17WarpLoadAlgorithmE1EiEvPT3_S3_
	.globl	_Z16warp_load_kernelILj256ELj64ELj32ELN6hipcub17WarpLoadAlgorithmE1EiEvPT3_S3_
	.p2align	8
	.type	_Z16warp_load_kernelILj256ELj64ELj32ELN6hipcub17WarpLoadAlgorithmE1EiEvPT3_S3_,@function
_Z16warp_load_kernelILj256ELj64ELj32ELN6hipcub17WarpLoadAlgorithmE1EiEvPT3_S3_: ; @_Z16warp_load_kernelILj256ELj64ELj32ELN6hipcub17WarpLoadAlgorithmE1EiEvPT3_S3_
; %bb.0:
	v_mbcnt_lo_u32_b32 v1, -1, 0
	v_mbcnt_hi_u32_b32 v1, -1, v1
	s_load_dwordx4 s[0:3], s[4:5], 0x0
	v_and_b32_e32 v5, 31, v1
	v_lshlrev_b32_e32 v1, 6, v0
	s_lshl_b32 s4, s6, 14
	v_and_b32_e32 v1, 0x3800, v1
	v_or_b32_e32 v1, s4, v1
	v_mov_b32_e32 v2, 0
	v_lshlrev_b64 v[3:4], 2, v[1:2]
	s_waitcnt lgkmcnt(0)
	v_mov_b32_e32 v1, s1
	v_add_co_u32_e32 v3, vcc, s0, v3
	v_addc_co_u32_e32 v1, vcc, v1, v4, vcc
	v_lshlrev_b32_e32 v4, 2, v5
	v_add_co_u32_e32 v3, vcc, v3, v4
	v_addc_co_u32_e32 v4, vcc, 0, v1, vcc
	global_load_dword v22, v[3:4], off
	global_load_dword v23, v[3:4], off offset:128
	global_load_dword v24, v[3:4], off offset:256
	;; [unrolled: 1-line block ×7, first 2 shown]
	s_movk_i32 s0, 0x1000
	v_or_b32_e32 v1, s4, v0
	v_add_co_u32_e32 v18, vcc, s0, v3
	v_lshlrev_b64 v[5:6], 2, v[1:2]
	v_addc_co_u32_e32 v19, vcc, 0, v4, vcc
	v_mov_b32_e32 v0, s3
	v_add_co_u32_e32 v20, vcc, s2, v5
	v_addc_co_u32_e32 v21, vcc, v0, v6, vcc
	global_load_dword v30, v[3:4], off offset:1024
	global_load_dword v31, v[3:4], off offset:1152
	;; [unrolled: 1-line block ×24, first 2 shown]
	global_load_dword v54, v[18:19], off
	global_load_dword v55, v[18:19], off offset:128
	global_load_dword v56, v[18:19], off offset:256
	;; [unrolled: 1-line block ×5, first 2 shown]
                                        ; kill: killed $vgpr3 killed $vgpr4
	global_load_dword v60, v[18:19], off offset:768
	global_load_dword v61, v[18:19], off offset:896
	;; [unrolled: 1-line block ×26, first 2 shown]
	v_or_b32_e32 v18, 0x400, v1
	v_mov_b32_e32 v19, v2
	v_lshlrev_b64 v[18:19], 2, v[18:19]
	s_waitcnt vmcnt(62)
	global_store_dword v[20:21], v22, off
	global_store_dword v[20:21], v23, off offset:1024
	s_waitcnt vmcnt(62)
	global_store_dword v[20:21], v24, off offset:2048
	global_store_dword v[20:21], v25, off offset:3072
	v_mov_b32_e32 v20, s3
	v_add_co_u32_e32 v18, vcc, s2, v18
	v_addc_co_u32_e32 v19, vcc, v20, v19, vcc
	s_waitcnt vmcnt(62)
	global_store_dword v[18:19], v26, off
	v_or_b32_e32 v18, 0x500, v1
	v_mov_b32_e32 v19, v2
	v_lshlrev_b64 v[18:19], 2, v[18:19]
	v_add_co_u32_e32 v18, vcc, s2, v18
	v_addc_co_u32_e32 v19, vcc, v20, v19, vcc
	global_store_dword v[18:19], v27, off
	v_or_b32_e32 v18, 0x600, v1
	v_mov_b32_e32 v19, v2
	v_lshlrev_b64 v[18:19], 2, v[18:19]
	v_add_co_u32_e32 v18, vcc, s2, v18
	v_addc_co_u32_e32 v19, vcc, v20, v19, vcc
	s_waitcnt vmcnt(62)
	global_store_dword v[18:19], v28, off
	v_or_b32_e32 v18, 0x700, v1
	v_mov_b32_e32 v19, v2
	v_lshlrev_b64 v[18:19], 2, v[18:19]
	v_add_co_u32_e32 v18, vcc, s2, v18
	v_addc_co_u32_e32 v19, vcc, v20, v19, vcc
	global_store_dword v[18:19], v29, off
	v_or_b32_e32 v18, 0x800, v1
	v_mov_b32_e32 v19, v2
	v_lshlrev_b64 v[18:19], 2, v[18:19]
	;; [unrolled: 13-line block ×22, first 2 shown]
	v_add_co_u32_e32 v18, vcc, s2, v18
	v_addc_co_u32_e32 v19, vcc, v20, v19, vcc
	s_waitcnt vmcnt(62)
	global_store_dword v[18:19], v17, off
	v_or_b32_e32 v17, 0x3100, v1
	v_mov_b32_e32 v18, v2
	v_lshlrev_b64 v[17:18], 2, v[17:18]
	v_mov_b32_e32 v19, s3
	v_add_co_u32_e32 v17, vcc, s2, v17
	v_addc_co_u32_e32 v18, vcc, v19, v18, vcc
	global_store_dword v[17:18], v16, off
	v_or_b32_e32 v16, 0x3200, v1
	v_mov_b32_e32 v17, v2
	v_lshlrev_b64 v[16:17], 2, v[16:17]
	v_mov_b32_e32 v18, s3
	v_add_co_u32_e32 v16, vcc, s2, v16
	v_addc_co_u32_e32 v17, vcc, v18, v17, vcc
	s_waitcnt vmcnt(62)
	global_store_dword v[16:17], v15, off
	v_or_b32_e32 v15, 0x3300, v1
	v_mov_b32_e32 v16, v2
	v_lshlrev_b64 v[15:16], 2, v[15:16]
	v_mov_b32_e32 v17, s3
	v_add_co_u32_e32 v15, vcc, s2, v15
	v_addc_co_u32_e32 v16, vcc, v17, v16, vcc
	global_store_dword v[15:16], v14, off
	v_or_b32_e32 v14, 0x3400, v1
	v_mov_b32_e32 v15, v2
	v_lshlrev_b64 v[14:15], 2, v[14:15]
	v_mov_b32_e32 v16, s3
	v_add_co_u32_e32 v14, vcc, s2, v14
	v_addc_co_u32_e32 v15, vcc, v16, v15, vcc
	s_waitcnt vmcnt(62)
	global_store_dword v[14:15], v13, off
	v_or_b32_e32 v13, 0x3500, v1
	v_mov_b32_e32 v14, v2
	v_lshlrev_b64 v[13:14], 2, v[13:14]
	v_mov_b32_e32 v15, s3
	v_add_co_u32_e32 v13, vcc, s2, v13
	v_addc_co_u32_e32 v14, vcc, v15, v14, vcc
	global_store_dword v[13:14], v12, off
	v_or_b32_e32 v12, 0x3600, v1
	v_mov_b32_e32 v13, v2
	v_lshlrev_b64 v[12:13], 2, v[12:13]
	v_mov_b32_e32 v14, s3
	v_add_co_u32_e32 v12, vcc, s2, v12
	v_addc_co_u32_e32 v13, vcc, v14, v13, vcc
	s_waitcnt vmcnt(62)
	global_store_dword v[12:13], v11, off
	v_or_b32_e32 v11, 0x3700, v1
	v_mov_b32_e32 v12, v2
	v_lshlrev_b64 v[11:12], 2, v[11:12]
	v_mov_b32_e32 v13, s3
	v_add_co_u32_e32 v11, vcc, s2, v11
	v_addc_co_u32_e32 v12, vcc, v13, v12, vcc
	global_store_dword v[11:12], v10, off
	v_or_b32_e32 v10, 0x3800, v1
	v_mov_b32_e32 v11, v2
	v_lshlrev_b64 v[10:11], 2, v[10:11]
	v_mov_b32_e32 v12, s3
	v_add_co_u32_e32 v10, vcc, s2, v10
	v_addc_co_u32_e32 v11, vcc, v12, v11, vcc
	s_waitcnt vmcnt(62)
	global_store_dword v[10:11], v9, off
	v_or_b32_e32 v9, 0x3900, v1
	v_mov_b32_e32 v10, v2
	v_lshlrev_b64 v[9:10], 2, v[9:10]
	v_mov_b32_e32 v11, s3
	v_add_co_u32_e32 v9, vcc, s2, v9
	v_addc_co_u32_e32 v10, vcc, v11, v10, vcc
	global_store_dword v[9:10], v8, off
	v_or_b32_e32 v8, 0x3a00, v1
	v_mov_b32_e32 v9, v2
	v_lshlrev_b64 v[8:9], 2, v[8:9]
	v_mov_b32_e32 v10, s3
	v_add_co_u32_e32 v8, vcc, s2, v8
	v_addc_co_u32_e32 v9, vcc, v10, v9, vcc
	s_waitcnt vmcnt(62)
	global_store_dword v[8:9], v7, off
	v_or_b32_e32 v7, 0x3b00, v1
	v_mov_b32_e32 v8, v2
	v_lshlrev_b64 v[7:8], 2, v[7:8]
	v_mov_b32_e32 v9, s3
	v_add_co_u32_e32 v7, vcc, s2, v7
	v_addc_co_u32_e32 v8, vcc, v9, v8, vcc
	global_store_dword v[7:8], v6, off
	v_or_b32_e32 v6, 0x3c00, v1
	v_mov_b32_e32 v7, v2
	v_lshlrev_b64 v[6:7], 2, v[6:7]
	v_mov_b32_e32 v8, s3
	v_add_co_u32_e32 v6, vcc, s2, v6
	v_addc_co_u32_e32 v7, vcc, v8, v7, vcc
	s_waitcnt vmcnt(62)
	global_store_dword v[6:7], v5, off
	v_or_b32_e32 v5, 0x3d00, v1
	v_mov_b32_e32 v6, v2
	v_lshlrev_b64 v[5:6], 2, v[5:6]
	v_mov_b32_e32 v7, s3
	v_add_co_u32_e32 v5, vcc, s2, v5
	v_addc_co_u32_e32 v6, vcc, v7, v6, vcc
	global_store_dword v[5:6], v4, off
	v_or_b32_e32 v4, 0x3e00, v1
	v_mov_b32_e32 v5, v2
	v_lshlrev_b64 v[4:5], 2, v[4:5]
	v_or_b32_e32 v1, 0x3f00, v1
	v_mov_b32_e32 v6, s3
	v_add_co_u32_e32 v4, vcc, s2, v4
	v_lshlrev_b64 v[1:2], 2, v[1:2]
	v_addc_co_u32_e32 v5, vcc, v6, v5, vcc
	s_waitcnt vmcnt(62)
	global_store_dword v[4:5], v3, off
	v_mov_b32_e32 v3, s3
	v_add_co_u32_e32 v1, vcc, s2, v1
	v_addc_co_u32_e32 v2, vcc, v3, v2, vcc
	global_store_dword v[1:2], v0, off
	s_endpgm
	.section	.rodata,"a",@progbits
	.p2align	6, 0x0
	.amdhsa_kernel _Z16warp_load_kernelILj256ELj64ELj32ELN6hipcub17WarpLoadAlgorithmE1EiEvPT3_S3_
		.amdhsa_group_segment_fixed_size 0
		.amdhsa_private_segment_fixed_size 0
		.amdhsa_kernarg_size 16
		.amdhsa_user_sgpr_count 6
		.amdhsa_user_sgpr_private_segment_buffer 1
		.amdhsa_user_sgpr_dispatch_ptr 0
		.amdhsa_user_sgpr_queue_ptr 0
		.amdhsa_user_sgpr_kernarg_segment_ptr 1
		.amdhsa_user_sgpr_dispatch_id 0
		.amdhsa_user_sgpr_flat_scratch_init 0
		.amdhsa_user_sgpr_private_segment_size 0
		.amdhsa_uses_dynamic_stack 0
		.amdhsa_system_sgpr_private_segment_wavefront_offset 0
		.amdhsa_system_sgpr_workgroup_id_x 1
		.amdhsa_system_sgpr_workgroup_id_y 0
		.amdhsa_system_sgpr_workgroup_id_z 0
		.amdhsa_system_sgpr_workgroup_info 0
		.amdhsa_system_vgpr_workitem_id 0
		.amdhsa_next_free_vgpr 70
		.amdhsa_next_free_sgpr 7
		.amdhsa_reserve_vcc 1
		.amdhsa_reserve_flat_scratch 0
		.amdhsa_float_round_mode_32 0
		.amdhsa_float_round_mode_16_64 0
		.amdhsa_float_denorm_mode_32 3
		.amdhsa_float_denorm_mode_16_64 3
		.amdhsa_dx10_clamp 1
		.amdhsa_ieee_mode 1
		.amdhsa_fp16_overflow 0
		.amdhsa_exception_fp_ieee_invalid_op 0
		.amdhsa_exception_fp_denorm_src 0
		.amdhsa_exception_fp_ieee_div_zero 0
		.amdhsa_exception_fp_ieee_overflow 0
		.amdhsa_exception_fp_ieee_underflow 0
		.amdhsa_exception_fp_ieee_inexact 0
		.amdhsa_exception_int_div_zero 0
	.end_amdhsa_kernel
	.section	.text._Z16warp_load_kernelILj256ELj64ELj32ELN6hipcub17WarpLoadAlgorithmE1EiEvPT3_S3_,"axG",@progbits,_Z16warp_load_kernelILj256ELj64ELj32ELN6hipcub17WarpLoadAlgorithmE1EiEvPT3_S3_,comdat
.Lfunc_end17:
	.size	_Z16warp_load_kernelILj256ELj64ELj32ELN6hipcub17WarpLoadAlgorithmE1EiEvPT3_S3_, .Lfunc_end17-_Z16warp_load_kernelILj256ELj64ELj32ELN6hipcub17WarpLoadAlgorithmE1EiEvPT3_S3_
                                        ; -- End function
	.set _Z16warp_load_kernelILj256ELj64ELj32ELN6hipcub17WarpLoadAlgorithmE1EiEvPT3_S3_.num_vgpr, 70
	.set _Z16warp_load_kernelILj256ELj64ELj32ELN6hipcub17WarpLoadAlgorithmE1EiEvPT3_S3_.num_agpr, 0
	.set _Z16warp_load_kernelILj256ELj64ELj32ELN6hipcub17WarpLoadAlgorithmE1EiEvPT3_S3_.numbered_sgpr, 7
	.set _Z16warp_load_kernelILj256ELj64ELj32ELN6hipcub17WarpLoadAlgorithmE1EiEvPT3_S3_.num_named_barrier, 0
	.set _Z16warp_load_kernelILj256ELj64ELj32ELN6hipcub17WarpLoadAlgorithmE1EiEvPT3_S3_.private_seg_size, 0
	.set _Z16warp_load_kernelILj256ELj64ELj32ELN6hipcub17WarpLoadAlgorithmE1EiEvPT3_S3_.uses_vcc, 1
	.set _Z16warp_load_kernelILj256ELj64ELj32ELN6hipcub17WarpLoadAlgorithmE1EiEvPT3_S3_.uses_flat_scratch, 0
	.set _Z16warp_load_kernelILj256ELj64ELj32ELN6hipcub17WarpLoadAlgorithmE1EiEvPT3_S3_.has_dyn_sized_stack, 0
	.set _Z16warp_load_kernelILj256ELj64ELj32ELN6hipcub17WarpLoadAlgorithmE1EiEvPT3_S3_.has_recursion, 0
	.set _Z16warp_load_kernelILj256ELj64ELj32ELN6hipcub17WarpLoadAlgorithmE1EiEvPT3_S3_.has_indirect_call, 0
	.section	.AMDGPU.csdata,"",@progbits
; Kernel info:
; codeLenInByte = 3020
; TotalNumSgprs: 11
; NumVgprs: 70
; ScratchSize: 0
; MemoryBound: 0
; FloatMode: 240
; IeeeMode: 1
; LDSByteSize: 0 bytes/workgroup (compile time only)
; SGPRBlocks: 1
; VGPRBlocks: 17
; NumSGPRsForWavesPerEU: 11
; NumVGPRsForWavesPerEU: 70
; Occupancy: 3
; WaveLimiterHint : 1
; COMPUTE_PGM_RSRC2:SCRATCH_EN: 0
; COMPUTE_PGM_RSRC2:USER_SGPR: 6
; COMPUTE_PGM_RSRC2:TRAP_HANDLER: 0
; COMPUTE_PGM_RSRC2:TGID_X_EN: 1
; COMPUTE_PGM_RSRC2:TGID_Y_EN: 0
; COMPUTE_PGM_RSRC2:TGID_Z_EN: 0
; COMPUTE_PGM_RSRC2:TIDIG_COMP_CNT: 0
	.section	.text._Z16warp_load_kernelILj256ELj64ELj32ELN6hipcub17WarpLoadAlgorithmE2EiEvPT3_S3_,"axG",@progbits,_Z16warp_load_kernelILj256ELj64ELj32ELN6hipcub17WarpLoadAlgorithmE2EiEvPT3_S3_,comdat
	.protected	_Z16warp_load_kernelILj256ELj64ELj32ELN6hipcub17WarpLoadAlgorithmE2EiEvPT3_S3_ ; -- Begin function _Z16warp_load_kernelILj256ELj64ELj32ELN6hipcub17WarpLoadAlgorithmE2EiEvPT3_S3_
	.globl	_Z16warp_load_kernelILj256ELj64ELj32ELN6hipcub17WarpLoadAlgorithmE2EiEvPT3_S3_
	.p2align	8
	.type	_Z16warp_load_kernelILj256ELj64ELj32ELN6hipcub17WarpLoadAlgorithmE2EiEvPT3_S3_,@function
_Z16warp_load_kernelILj256ELj64ELj32ELN6hipcub17WarpLoadAlgorithmE2EiEvPT3_S3_: ; @_Z16warp_load_kernelILj256ELj64ELj32ELN6hipcub17WarpLoadAlgorithmE2EiEvPT3_S3_
; %bb.0:
	v_mbcnt_lo_u32_b32 v1, -1, 0
	s_load_dwordx4 s[0:3], s[4:5], 0x0
	v_mbcnt_hi_u32_b32 v3, -1, v1
	v_lshlrev_b32_e32 v1, 6, v0
	s_lshl_b32 s4, s6, 14
	v_and_b32_e32 v1, 0x3800, v1
	v_or_b32_e32 v16, s4, v1
	v_mov_b32_e32 v17, 0
	v_lshlrev_b64 v[1:2], 2, v[16:17]
	s_waitcnt lgkmcnt(0)
	v_mov_b32_e32 v4, s1
	v_add_co_u32_e32 v1, vcc, s0, v1
	v_lshlrev_b32_e32 v3, 8, v3
	v_addc_co_u32_e32 v2, vcc, v4, v2, vcc
	v_and_b32_e32 v3, 0x1f00, v3
	v_add_co_u32_e32 v66, vcc, v1, v3
	v_addc_co_u32_e32 v67, vcc, 0, v2, vcc
	global_load_dwordx4 v[18:21], v[66:67], off
	global_load_dwordx4 v[22:25], v[66:67], off offset:16
	global_load_dwordx4 v[26:29], v[66:67], off offset:48
	;; [unrolled: 1-line block ×3, first 2 shown]
	v_or_b32_e32 v16, s4, v0
	v_lshlrev_b64 v[10:11], 2, v[16:17]
	v_mov_b32_e32 v1, v17
	v_or_b32_e32 v0, 0x400, v16
	v_mov_b32_e32 v12, s3
	v_lshlrev_b64 v[0:1], 2, v[0:1]
	v_add_co_u32_e32 v70, vcc, s2, v10
	v_mov_b32_e32 v3, v17
	v_or_b32_e32 v2, 0x500, v16
	v_addc_co_u32_e32 v71, vcc, v12, v11, vcc
	v_mov_b32_e32 v13, s3
	v_lshlrev_b64 v[2:3], 2, v[2:3]
	v_add_co_u32_e32 v72, vcc, s2, v0
	v_mov_b32_e32 v5, v17
	v_or_b32_e32 v4, 0x600, v16
	v_addc_co_u32_e32 v73, vcc, v13, v1, vcc
	;; [unrolled: 6-line block ×3, first 2 shown]
	v_mov_b32_e32 v15, s3
	v_lshlrev_b64 v[6:7], 2, v[6:7]
	v_add_co_u32_e32 v76, vcc, s2, v4
	v_addc_co_u32_e32 v77, vcc, v15, v5, vcc
	v_mov_b32_e32 v9, v17
	v_or_b32_e32 v8, 0x800, v16
	v_mov_b32_e32 v34, s3
	v_add_co_u32_e32 v78, vcc, s2, v6
	v_lshlrev_b64 v[68:69], 2, v[8:9]
	v_addc_co_u32_e32 v79, vcc, v34, v7, vcc
	global_load_dwordx4 v[34:37], v[66:67], off offset:112
	global_load_dwordx4 v[38:41], v[66:67], off offset:96
	;; [unrolled: 1-line block ×12, first 2 shown]
	v_mov_b32_e32 v80, s3
	v_mov_b32_e32 v66, s3
	s_waitcnt vmcnt(15)
	global_store_dword v[70:71], v18, off
	global_store_dword v[70:71], v19, off offset:1024
	global_store_dword v[70:71], v20, off offset:2048
	;; [unrolled: 1-line block ×3, first 2 shown]
	s_waitcnt vmcnt(18)
	global_store_dword v[72:73], v22, off
	global_store_dword v[74:75], v23, off
	;; [unrolled: 1-line block ×4, first 2 shown]
	v_or_b32_e32 v20, 0x900, v16
	v_mov_b32_e32 v21, v17
	v_add_co_u32_e32 v18, vcc, s2, v68
	v_lshlrev_b64 v[20:21], 2, v[20:21]
	v_addc_co_u32_e32 v19, vcc, v80, v69, vcc
	v_mov_b32_e32 v22, s3
	v_add_co_u32_e32 v20, vcc, s2, v20
	v_addc_co_u32_e32 v21, vcc, v22, v21, vcc
	v_or_b32_e32 v22, 0xa00, v16
	v_mov_b32_e32 v23, v17
	v_lshlrev_b64 v[22:23], 2, v[22:23]
	v_mov_b32_e32 v24, s3
	v_add_co_u32_e32 v22, vcc, s2, v22
	v_addc_co_u32_e32 v23, vcc, v24, v23, vcc
	v_or_b32_e32 v24, 0xb00, v16
	v_mov_b32_e32 v25, v17
	v_lshlrev_b64 v[24:25], 2, v[24:25]
	v_add_co_u32_e32 v24, vcc, s2, v24
	v_addc_co_u32_e32 v25, vcc, v66, v25, vcc
	s_waitcnt vmcnt(20)
	global_store_dword v[18:19], v30, off
	global_store_dword v[20:21], v31, off
	;; [unrolled: 1-line block ×4, first 2 shown]
	v_or_b32_e32 v18, 0xc00, v16
	v_mov_b32_e32 v19, v17
	v_lshlrev_b64 v[18:19], 2, v[18:19]
	v_mov_b32_e32 v20, s3
	v_add_co_u32_e32 v18, vcc, s2, v18
	v_addc_co_u32_e32 v19, vcc, v20, v19, vcc
	v_or_b32_e32 v20, 0xd00, v16
	v_mov_b32_e32 v21, v17
	v_lshlrev_b64 v[20:21], 2, v[20:21]
	v_mov_b32_e32 v22, s3
	v_add_co_u32_e32 v20, vcc, s2, v20
	v_addc_co_u32_e32 v21, vcc, v22, v21, vcc
	;; [unrolled: 6-line block ×4, first 2 shown]
	global_store_dword v[18:19], v26, off
	global_store_dword v[20:21], v27, off
	global_store_dword v[22:23], v28, off
	global_store_dword v[24:25], v29, off
	v_or_b32_e32 v18, 0x1000, v16
	v_mov_b32_e32 v19, v17
	v_lshlrev_b64 v[18:19], 2, v[18:19]
	v_mov_b32_e32 v20, s3
	v_add_co_u32_e32 v18, vcc, s2, v18
	v_addc_co_u32_e32 v19, vcc, v20, v19, vcc
	v_or_b32_e32 v20, 0x1100, v16
	v_mov_b32_e32 v21, v17
	v_lshlrev_b64 v[20:21], 2, v[20:21]
	v_mov_b32_e32 v22, s3
	v_add_co_u32_e32 v20, vcc, s2, v20
	v_addc_co_u32_e32 v21, vcc, v22, v21, vcc
	;; [unrolled: 6-line block ×4, first 2 shown]
	s_waitcnt vmcnt(24)
	global_store_dword v[18:19], v46, off
	global_store_dword v[20:21], v47, off
	global_store_dword v[22:23], v48, off
	global_store_dword v[24:25], v49, off
	v_or_b32_e32 v18, 0x1400, v16
	v_mov_b32_e32 v19, v17
	v_lshlrev_b64 v[18:19], 2, v[18:19]
	v_mov_b32_e32 v20, s3
	v_add_co_u32_e32 v18, vcc, s2, v18
	v_addc_co_u32_e32 v19, vcc, v20, v19, vcc
	v_or_b32_e32 v20, 0x1500, v16
	v_mov_b32_e32 v21, v17
	v_lshlrev_b64 v[20:21], 2, v[20:21]
	v_mov_b32_e32 v22, s3
	v_add_co_u32_e32 v20, vcc, s2, v20
	v_addc_co_u32_e32 v21, vcc, v22, v21, vcc
	v_or_b32_e32 v22, 0x1600, v16
	v_mov_b32_e32 v23, v17
	v_lshlrev_b64 v[22:23], 2, v[22:23]
	v_mov_b32_e32 v24, s3
	v_add_co_u32_e32 v22, vcc, s2, v22
	v_addc_co_u32_e32 v23, vcc, v24, v23, vcc
	v_or_b32_e32 v24, 0x1700, v16
	v_mov_b32_e32 v25, v17
	v_lshlrev_b64 v[24:25], 2, v[24:25]
	v_add_co_u32_e32 v24, vcc, s2, v24
	v_addc_co_u32_e32 v25, vcc, v26, v25, vcc
	global_store_dword v[18:19], v42, off
	global_store_dword v[20:21], v43, off
	global_store_dword v[22:23], v44, off
	global_store_dword v[24:25], v45, off
	v_or_b32_e32 v18, 0x1800, v16
	v_mov_b32_e32 v19, v17
	v_lshlrev_b64 v[18:19], 2, v[18:19]
	v_mov_b32_e32 v20, s3
	v_add_co_u32_e32 v18, vcc, s2, v18
	v_addc_co_u32_e32 v19, vcc, v20, v19, vcc
	v_or_b32_e32 v20, 0x1900, v16
	v_mov_b32_e32 v21, v17
	v_lshlrev_b64 v[20:21], 2, v[20:21]
	v_mov_b32_e32 v22, s3
	v_add_co_u32_e32 v20, vcc, s2, v20
	v_addc_co_u32_e32 v21, vcc, v22, v21, vcc
	v_or_b32_e32 v22, 0x1a00, v16
	v_mov_b32_e32 v23, v17
	v_lshlrev_b64 v[22:23], 2, v[22:23]
	v_mov_b32_e32 v24, s3
	v_add_co_u32_e32 v22, vcc, s2, v22
	v_addc_co_u32_e32 v23, vcc, v24, v23, vcc
	v_or_b32_e32 v24, 0x1b00, v16
	v_mov_b32_e32 v25, v17
	v_lshlrev_b64 v[24:25], 2, v[24:25]
	v_add_co_u32_e32 v24, vcc, s2, v24
	v_addc_co_u32_e32 v25, vcc, v26, v25, vcc
	;; [unrolled: 27-line block ×4, first 2 shown]
	s_waitcnt vmcnt(36)
	global_store_dword v[18:19], v62, off
	global_store_dword v[20:21], v63, off
	global_store_dword v[22:23], v64, off
	global_store_dword v[24:25], v65, off
	v_or_b32_e32 v18, 0x2400, v16
	v_mov_b32_e32 v19, v17
	v_lshlrev_b64 v[18:19], 2, v[18:19]
	v_mov_b32_e32 v20, s3
	v_add_co_u32_e32 v18, vcc, s2, v18
	v_addc_co_u32_e32 v19, vcc, v20, v19, vcc
	v_or_b32_e32 v20, 0x2500, v16
	v_mov_b32_e32 v21, v17
	v_lshlrev_b64 v[20:21], 2, v[20:21]
	v_mov_b32_e32 v22, s3
	v_add_co_u32_e32 v20, vcc, s2, v20
	v_addc_co_u32_e32 v21, vcc, v22, v21, vcc
	v_or_b32_e32 v22, 0x2600, v16
	v_mov_b32_e32 v23, v17
	v_lshlrev_b64 v[22:23], 2, v[22:23]
	v_mov_b32_e32 v24, s3
	v_add_co_u32_e32 v22, vcc, s2, v22
	v_addc_co_u32_e32 v23, vcc, v24, v23, vcc
	v_or_b32_e32 v24, 0x2700, v16
	v_mov_b32_e32 v25, v17
	v_lshlrev_b64 v[24:25], 2, v[24:25]
	v_add_co_u32_e32 v24, vcc, s2, v24
	v_addc_co_u32_e32 v25, vcc, v26, v25, vcc
	global_store_dword v[18:19], v58, off
	global_store_dword v[20:21], v59, off
	global_store_dword v[22:23], v60, off
	global_store_dword v[24:25], v61, off
	v_or_b32_e32 v18, 0x2800, v16
	v_mov_b32_e32 v19, v17
	v_lshlrev_b64 v[18:19], 2, v[18:19]
	v_mov_b32_e32 v20, s3
	v_add_co_u32_e32 v18, vcc, s2, v18
	v_addc_co_u32_e32 v19, vcc, v20, v19, vcc
	v_or_b32_e32 v20, 0x2900, v16
	v_mov_b32_e32 v21, v17
	v_lshlrev_b64 v[20:21], 2, v[20:21]
	v_mov_b32_e32 v22, s3
	v_add_co_u32_e32 v20, vcc, s2, v20
	v_addc_co_u32_e32 v21, vcc, v22, v21, vcc
	v_or_b32_e32 v22, 0x2a00, v16
	v_mov_b32_e32 v23, v17
	v_lshlrev_b64 v[22:23], 2, v[22:23]
	v_mov_b32_e32 v24, s3
	v_add_co_u32_e32 v22, vcc, s2, v22
	v_addc_co_u32_e32 v23, vcc, v24, v23, vcc
	v_or_b32_e32 v24, 0x2b00, v16
	v_mov_b32_e32 v25, v17
	v_lshlrev_b64 v[24:25], 2, v[24:25]
	v_add_co_u32_e32 v24, vcc, s2, v24
	v_addc_co_u32_e32 v25, vcc, v26, v25, vcc
	;; [unrolled: 27-line block ×4, first 2 shown]
	s_waitcnt vmcnt(48)
	global_store_dword v[18:19], v12, off
	global_store_dword v[20:21], v13, off
	;; [unrolled: 1-line block ×4, first 2 shown]
	v_or_b32_e32 v12, 0x3400, v16
	v_mov_b32_e32 v13, v17
	v_lshlrev_b64 v[12:13], 2, v[12:13]
	v_mov_b32_e32 v14, s3
	v_add_co_u32_e32 v12, vcc, s2, v12
	v_addc_co_u32_e32 v13, vcc, v14, v13, vcc
	global_store_dword v[12:13], v8, off
	v_or_b32_e32 v12, 0x3500, v16
	v_mov_b32_e32 v13, v17
	v_lshlrev_b64 v[12:13], 2, v[12:13]
	v_mov_b32_e32 v8, s3
	v_add_co_u32_e32 v12, vcc, s2, v12
	v_addc_co_u32_e32 v13, vcc, v8, v13, vcc
	global_store_dword v[12:13], v9, off
	;; [unrolled: 7-line block ×4, first 2 shown]
	v_or_b32_e32 v8, 0x3800, v16
	v_mov_b32_e32 v9, v17
	v_lshlrev_b64 v[8:9], 2, v[8:9]
	v_add_co_u32_e32 v8, vcc, s2, v8
	v_addc_co_u32_e32 v9, vcc, v10, v9, vcc
	global_store_dword v[8:9], v4, off
	v_or_b32_e32 v8, 0x3900, v16
	v_mov_b32_e32 v9, v17
	v_lshlrev_b64 v[8:9], 2, v[8:9]
	v_mov_b32_e32 v4, s3
	v_add_co_u32_e32 v8, vcc, s2, v8
	v_addc_co_u32_e32 v9, vcc, v4, v9, vcc
	global_store_dword v[8:9], v5, off
	v_or_b32_e32 v4, 0x3a00, v16
	v_mov_b32_e32 v5, v17
	v_lshlrev_b64 v[4:5], 2, v[4:5]
	v_mov_b32_e32 v8, s3
	;; [unrolled: 7-line block ×3, first 2 shown]
	v_add_co_u32_e32 v4, vcc, s2, v4
	v_addc_co_u32_e32 v5, vcc, v6, v5, vcc
	global_store_dword v[4:5], v7, off
	v_or_b32_e32 v4, 0x3c00, v16
	v_mov_b32_e32 v5, v17
	v_lshlrev_b64 v[4:5], 2, v[4:5]
	v_add_co_u32_e32 v4, vcc, s2, v4
	v_addc_co_u32_e32 v5, vcc, v6, v5, vcc
	global_store_dword v[4:5], v0, off
	v_or_b32_e32 v4, 0x3d00, v16
	v_mov_b32_e32 v5, v17
	v_lshlrev_b64 v[4:5], 2, v[4:5]
	v_mov_b32_e32 v0, s3
	v_add_co_u32_e32 v4, vcc, s2, v4
	v_addc_co_u32_e32 v5, vcc, v0, v5, vcc
	global_store_dword v[4:5], v1, off
	v_or_b32_e32 v0, 0x3e00, v16
	v_mov_b32_e32 v1, v17
	v_lshlrev_b64 v[0:1], 2, v[0:1]
	v_mov_b32_e32 v4, s3
	v_add_co_u32_e32 v0, vcc, s2, v0
	v_addc_co_u32_e32 v1, vcc, v4, v1, vcc
	v_or_b32_e32 v16, 0x3f00, v16
	global_store_dword v[0:1], v2, off
	v_lshlrev_b64 v[0:1], 2, v[16:17]
	v_mov_b32_e32 v2, s3
	v_add_co_u32_e32 v0, vcc, s2, v0
	v_addc_co_u32_e32 v1, vcc, v2, v1, vcc
	global_store_dword v[0:1], v3, off
	s_endpgm
	.section	.rodata,"a",@progbits
	.p2align	6, 0x0
	.amdhsa_kernel _Z16warp_load_kernelILj256ELj64ELj32ELN6hipcub17WarpLoadAlgorithmE2EiEvPT3_S3_
		.amdhsa_group_segment_fixed_size 0
		.amdhsa_private_segment_fixed_size 0
		.amdhsa_kernarg_size 16
		.amdhsa_user_sgpr_count 6
		.amdhsa_user_sgpr_private_segment_buffer 1
		.amdhsa_user_sgpr_dispatch_ptr 0
		.amdhsa_user_sgpr_queue_ptr 0
		.amdhsa_user_sgpr_kernarg_segment_ptr 1
		.amdhsa_user_sgpr_dispatch_id 0
		.amdhsa_user_sgpr_flat_scratch_init 0
		.amdhsa_user_sgpr_private_segment_size 0
		.amdhsa_uses_dynamic_stack 0
		.amdhsa_system_sgpr_private_segment_wavefront_offset 0
		.amdhsa_system_sgpr_workgroup_id_x 1
		.amdhsa_system_sgpr_workgroup_id_y 0
		.amdhsa_system_sgpr_workgroup_id_z 0
		.amdhsa_system_sgpr_workgroup_info 0
		.amdhsa_system_vgpr_workitem_id 0
		.amdhsa_next_free_vgpr 81
		.amdhsa_next_free_sgpr 7
		.amdhsa_reserve_vcc 1
		.amdhsa_reserve_flat_scratch 0
		.amdhsa_float_round_mode_32 0
		.amdhsa_float_round_mode_16_64 0
		.amdhsa_float_denorm_mode_32 3
		.amdhsa_float_denorm_mode_16_64 3
		.amdhsa_dx10_clamp 1
		.amdhsa_ieee_mode 1
		.amdhsa_fp16_overflow 0
		.amdhsa_exception_fp_ieee_invalid_op 0
		.amdhsa_exception_fp_denorm_src 0
		.amdhsa_exception_fp_ieee_div_zero 0
		.amdhsa_exception_fp_ieee_overflow 0
		.amdhsa_exception_fp_ieee_underflow 0
		.amdhsa_exception_fp_ieee_inexact 0
		.amdhsa_exception_int_div_zero 0
	.end_amdhsa_kernel
	.section	.text._Z16warp_load_kernelILj256ELj64ELj32ELN6hipcub17WarpLoadAlgorithmE2EiEvPT3_S3_,"axG",@progbits,_Z16warp_load_kernelILj256ELj64ELj32ELN6hipcub17WarpLoadAlgorithmE2EiEvPT3_S3_,comdat
.Lfunc_end18:
	.size	_Z16warp_load_kernelILj256ELj64ELj32ELN6hipcub17WarpLoadAlgorithmE2EiEvPT3_S3_, .Lfunc_end18-_Z16warp_load_kernelILj256ELj64ELj32ELN6hipcub17WarpLoadAlgorithmE2EiEvPT3_S3_
                                        ; -- End function
	.set _Z16warp_load_kernelILj256ELj64ELj32ELN6hipcub17WarpLoadAlgorithmE2EiEvPT3_S3_.num_vgpr, 81
	.set _Z16warp_load_kernelILj256ELj64ELj32ELN6hipcub17WarpLoadAlgorithmE2EiEvPT3_S3_.num_agpr, 0
	.set _Z16warp_load_kernelILj256ELj64ELj32ELN6hipcub17WarpLoadAlgorithmE2EiEvPT3_S3_.numbered_sgpr, 7
	.set _Z16warp_load_kernelILj256ELj64ELj32ELN6hipcub17WarpLoadAlgorithmE2EiEvPT3_S3_.num_named_barrier, 0
	.set _Z16warp_load_kernelILj256ELj64ELj32ELN6hipcub17WarpLoadAlgorithmE2EiEvPT3_S3_.private_seg_size, 0
	.set _Z16warp_load_kernelILj256ELj64ELj32ELN6hipcub17WarpLoadAlgorithmE2EiEvPT3_S3_.uses_vcc, 1
	.set _Z16warp_load_kernelILj256ELj64ELj32ELN6hipcub17WarpLoadAlgorithmE2EiEvPT3_S3_.uses_flat_scratch, 0
	.set _Z16warp_load_kernelILj256ELj64ELj32ELN6hipcub17WarpLoadAlgorithmE2EiEvPT3_S3_.has_dyn_sized_stack, 0
	.set _Z16warp_load_kernelILj256ELj64ELj32ELN6hipcub17WarpLoadAlgorithmE2EiEvPT3_S3_.has_recursion, 0
	.set _Z16warp_load_kernelILj256ELj64ELj32ELN6hipcub17WarpLoadAlgorithmE2EiEvPT3_S3_.has_indirect_call, 0
	.section	.AMDGPU.csdata,"",@progbits
; Kernel info:
; codeLenInByte = 2660
; TotalNumSgprs: 11
; NumVgprs: 81
; ScratchSize: 0
; MemoryBound: 0
; FloatMode: 240
; IeeeMode: 1
; LDSByteSize: 0 bytes/workgroup (compile time only)
; SGPRBlocks: 1
; VGPRBlocks: 20
; NumSGPRsForWavesPerEU: 11
; NumVGPRsForWavesPerEU: 81
; Occupancy: 3
; WaveLimiterHint : 1
; COMPUTE_PGM_RSRC2:SCRATCH_EN: 0
; COMPUTE_PGM_RSRC2:USER_SGPR: 6
; COMPUTE_PGM_RSRC2:TRAP_HANDLER: 0
; COMPUTE_PGM_RSRC2:TGID_X_EN: 1
; COMPUTE_PGM_RSRC2:TGID_Y_EN: 0
; COMPUTE_PGM_RSRC2:TGID_Z_EN: 0
; COMPUTE_PGM_RSRC2:TIDIG_COMP_CNT: 0
	.section	.text._Z16warp_load_kernelILj256ELj4ELj32ELN6hipcub17WarpLoadAlgorithmE0EdEvPT3_S3_,"axG",@progbits,_Z16warp_load_kernelILj256ELj4ELj32ELN6hipcub17WarpLoadAlgorithmE0EdEvPT3_S3_,comdat
	.protected	_Z16warp_load_kernelILj256ELj4ELj32ELN6hipcub17WarpLoadAlgorithmE0EdEvPT3_S3_ ; -- Begin function _Z16warp_load_kernelILj256ELj4ELj32ELN6hipcub17WarpLoadAlgorithmE0EdEvPT3_S3_
	.globl	_Z16warp_load_kernelILj256ELj4ELj32ELN6hipcub17WarpLoadAlgorithmE0EdEvPT3_S3_
	.p2align	8
	.type	_Z16warp_load_kernelILj256ELj4ELj32ELN6hipcub17WarpLoadAlgorithmE0EdEvPT3_S3_,@function
_Z16warp_load_kernelILj256ELj4ELj32ELN6hipcub17WarpLoadAlgorithmE0EdEvPT3_S3_: ; @_Z16warp_load_kernelILj256ELj4ELj32ELN6hipcub17WarpLoadAlgorithmE0EdEvPT3_S3_
; %bb.0:
	v_mbcnt_lo_u32_b32 v1, -1, 0
	s_load_dwordx4 s[0:3], s[4:5], 0x0
	v_mbcnt_hi_u32_b32 v3, -1, v1
	v_lshlrev_b32_e32 v1, 2, v0
	s_lshl_b32 s4, s6, 10
	v_and_b32_e32 v1, 0x380, v1
	v_or_b32_e32 v9, s4, v1
	v_mov_b32_e32 v10, 0
	v_lshlrev_b64 v[1:2], 3, v[9:10]
	s_waitcnt lgkmcnt(0)
	v_mov_b32_e32 v4, s1
	v_add_co_u32_e32 v1, vcc, s0, v1
	v_lshlrev_b32_e32 v3, 5, v3
	v_addc_co_u32_e32 v2, vcc, v4, v2, vcc
	v_and_b32_e32 v3, 0x3e0, v3
	v_add_co_u32_e32 v11, vcc, v1, v3
	v_addc_co_u32_e32 v12, vcc, 0, v2, vcc
	global_load_dwordx4 v[1:4], v[11:12], off
	global_load_dwordx4 v[5:8], v[11:12], off offset:16
	v_or_b32_e32 v9, s4, v0
	v_lshlrev_b64 v[15:16], 3, v[9:10]
	v_mov_b32_e32 v12, v10
	v_or_b32_e32 v11, 0x100, v9
	v_mov_b32_e32 v0, s3
	v_lshlrev_b64 v[11:12], 3, v[11:12]
	v_add_co_u32_e32 v15, vcc, s2, v15
	v_mov_b32_e32 v14, v10
	v_or_b32_e32 v13, 0x200, v9
	v_addc_co_u32_e32 v16, vcc, v0, v16, vcc
	v_mov_b32_e32 v17, s3
	v_lshlrev_b64 v[13:14], 3, v[13:14]
	v_add_co_u32_e32 v11, vcc, s2, v11
	v_or_b32_e32 v9, 0x300, v9
	v_addc_co_u32_e32 v12, vcc, v17, v12, vcc
	v_lshlrev_b64 v[9:10], 3, v[9:10]
	v_add_co_u32_e32 v13, vcc, s2, v13
	v_addc_co_u32_e32 v14, vcc, v0, v14, vcc
	v_add_co_u32_e32 v9, vcc, s2, v9
	v_addc_co_u32_e32 v10, vcc, v17, v10, vcc
	s_waitcnt vmcnt(1)
	global_store_dwordx2 v[15:16], v[1:2], off
	global_store_dwordx2 v[11:12], v[3:4], off
	s_waitcnt vmcnt(2)
	global_store_dwordx2 v[13:14], v[5:6], off
	global_store_dwordx2 v[9:10], v[7:8], off
	s_endpgm
	.section	.rodata,"a",@progbits
	.p2align	6, 0x0
	.amdhsa_kernel _Z16warp_load_kernelILj256ELj4ELj32ELN6hipcub17WarpLoadAlgorithmE0EdEvPT3_S3_
		.amdhsa_group_segment_fixed_size 0
		.amdhsa_private_segment_fixed_size 0
		.amdhsa_kernarg_size 16
		.amdhsa_user_sgpr_count 6
		.amdhsa_user_sgpr_private_segment_buffer 1
		.amdhsa_user_sgpr_dispatch_ptr 0
		.amdhsa_user_sgpr_queue_ptr 0
		.amdhsa_user_sgpr_kernarg_segment_ptr 1
		.amdhsa_user_sgpr_dispatch_id 0
		.amdhsa_user_sgpr_flat_scratch_init 0
		.amdhsa_user_sgpr_private_segment_size 0
		.amdhsa_uses_dynamic_stack 0
		.amdhsa_system_sgpr_private_segment_wavefront_offset 0
		.amdhsa_system_sgpr_workgroup_id_x 1
		.amdhsa_system_sgpr_workgroup_id_y 0
		.amdhsa_system_sgpr_workgroup_id_z 0
		.amdhsa_system_sgpr_workgroup_info 0
		.amdhsa_system_vgpr_workitem_id 0
		.amdhsa_next_free_vgpr 18
		.amdhsa_next_free_sgpr 7
		.amdhsa_reserve_vcc 1
		.amdhsa_reserve_flat_scratch 0
		.amdhsa_float_round_mode_32 0
		.amdhsa_float_round_mode_16_64 0
		.amdhsa_float_denorm_mode_32 3
		.amdhsa_float_denorm_mode_16_64 3
		.amdhsa_dx10_clamp 1
		.amdhsa_ieee_mode 1
		.amdhsa_fp16_overflow 0
		.amdhsa_exception_fp_ieee_invalid_op 0
		.amdhsa_exception_fp_denorm_src 0
		.amdhsa_exception_fp_ieee_div_zero 0
		.amdhsa_exception_fp_ieee_overflow 0
		.amdhsa_exception_fp_ieee_underflow 0
		.amdhsa_exception_fp_ieee_inexact 0
		.amdhsa_exception_int_div_zero 0
	.end_amdhsa_kernel
	.section	.text._Z16warp_load_kernelILj256ELj4ELj32ELN6hipcub17WarpLoadAlgorithmE0EdEvPT3_S3_,"axG",@progbits,_Z16warp_load_kernelILj256ELj4ELj32ELN6hipcub17WarpLoadAlgorithmE0EdEvPT3_S3_,comdat
.Lfunc_end19:
	.size	_Z16warp_load_kernelILj256ELj4ELj32ELN6hipcub17WarpLoadAlgorithmE0EdEvPT3_S3_, .Lfunc_end19-_Z16warp_load_kernelILj256ELj4ELj32ELN6hipcub17WarpLoadAlgorithmE0EdEvPT3_S3_
                                        ; -- End function
	.set _Z16warp_load_kernelILj256ELj4ELj32ELN6hipcub17WarpLoadAlgorithmE0EdEvPT3_S3_.num_vgpr, 18
	.set _Z16warp_load_kernelILj256ELj4ELj32ELN6hipcub17WarpLoadAlgorithmE0EdEvPT3_S3_.num_agpr, 0
	.set _Z16warp_load_kernelILj256ELj4ELj32ELN6hipcub17WarpLoadAlgorithmE0EdEvPT3_S3_.numbered_sgpr, 7
	.set _Z16warp_load_kernelILj256ELj4ELj32ELN6hipcub17WarpLoadAlgorithmE0EdEvPT3_S3_.num_named_barrier, 0
	.set _Z16warp_load_kernelILj256ELj4ELj32ELN6hipcub17WarpLoadAlgorithmE0EdEvPT3_S3_.private_seg_size, 0
	.set _Z16warp_load_kernelILj256ELj4ELj32ELN6hipcub17WarpLoadAlgorithmE0EdEvPT3_S3_.uses_vcc, 1
	.set _Z16warp_load_kernelILj256ELj4ELj32ELN6hipcub17WarpLoadAlgorithmE0EdEvPT3_S3_.uses_flat_scratch, 0
	.set _Z16warp_load_kernelILj256ELj4ELj32ELN6hipcub17WarpLoadAlgorithmE0EdEvPT3_S3_.has_dyn_sized_stack, 0
	.set _Z16warp_load_kernelILj256ELj4ELj32ELN6hipcub17WarpLoadAlgorithmE0EdEvPT3_S3_.has_recursion, 0
	.set _Z16warp_load_kernelILj256ELj4ELj32ELN6hipcub17WarpLoadAlgorithmE0EdEvPT3_S3_.has_indirect_call, 0
	.section	.AMDGPU.csdata,"",@progbits
; Kernel info:
; codeLenInByte = 260
; TotalNumSgprs: 11
; NumVgprs: 18
; ScratchSize: 0
; MemoryBound: 0
; FloatMode: 240
; IeeeMode: 1
; LDSByteSize: 0 bytes/workgroup (compile time only)
; SGPRBlocks: 1
; VGPRBlocks: 4
; NumSGPRsForWavesPerEU: 11
; NumVGPRsForWavesPerEU: 18
; Occupancy: 10
; WaveLimiterHint : 0
; COMPUTE_PGM_RSRC2:SCRATCH_EN: 0
; COMPUTE_PGM_RSRC2:USER_SGPR: 6
; COMPUTE_PGM_RSRC2:TRAP_HANDLER: 0
; COMPUTE_PGM_RSRC2:TGID_X_EN: 1
; COMPUTE_PGM_RSRC2:TGID_Y_EN: 0
; COMPUTE_PGM_RSRC2:TGID_Z_EN: 0
; COMPUTE_PGM_RSRC2:TIDIG_COMP_CNT: 0
	.section	.text._Z16warp_load_kernelILj256ELj4ELj32ELN6hipcub17WarpLoadAlgorithmE1EdEvPT3_S3_,"axG",@progbits,_Z16warp_load_kernelILj256ELj4ELj32ELN6hipcub17WarpLoadAlgorithmE1EdEvPT3_S3_,comdat
	.protected	_Z16warp_load_kernelILj256ELj4ELj32ELN6hipcub17WarpLoadAlgorithmE1EdEvPT3_S3_ ; -- Begin function _Z16warp_load_kernelILj256ELj4ELj32ELN6hipcub17WarpLoadAlgorithmE1EdEvPT3_S3_
	.globl	_Z16warp_load_kernelILj256ELj4ELj32ELN6hipcub17WarpLoadAlgorithmE1EdEvPT3_S3_
	.p2align	8
	.type	_Z16warp_load_kernelILj256ELj4ELj32ELN6hipcub17WarpLoadAlgorithmE1EdEvPT3_S3_,@function
_Z16warp_load_kernelILj256ELj4ELj32ELN6hipcub17WarpLoadAlgorithmE1EdEvPT3_S3_: ; @_Z16warp_load_kernelILj256ELj4ELj32ELN6hipcub17WarpLoadAlgorithmE1EdEvPT3_S3_
; %bb.0:
	v_mbcnt_lo_u32_b32 v1, -1, 0
	v_mbcnt_hi_u32_b32 v1, -1, v1
	s_load_dwordx4 s[0:3], s[4:5], 0x0
	v_and_b32_e32 v5, 31, v1
	v_lshlrev_b32_e32 v1, 2, v0
	s_lshl_b32 s4, s6, 10
	v_and_b32_e32 v1, 0x380, v1
	v_or_b32_e32 v1, s4, v1
	v_mov_b32_e32 v2, 0
	v_lshlrev_b64 v[3:4], 3, v[1:2]
	s_waitcnt lgkmcnt(0)
	v_mov_b32_e32 v1, s1
	v_add_co_u32_e32 v3, vcc, s0, v3
	v_addc_co_u32_e32 v1, vcc, v1, v4, vcc
	v_lshlrev_b32_e32 v4, 3, v5
	v_add_co_u32_e32 v3, vcc, v3, v4
	v_addc_co_u32_e32 v4, vcc, 0, v1, vcc
	global_load_dwordx2 v[5:6], v[3:4], off
	global_load_dwordx2 v[7:8], v[3:4], off offset:256
	global_load_dwordx2 v[9:10], v[3:4], off offset:512
	;; [unrolled: 1-line block ×3, first 2 shown]
	v_or_b32_e32 v1, s4, v0
	v_lshlrev_b64 v[15:16], 3, v[1:2]
	v_mov_b32_e32 v4, v2
	v_or_b32_e32 v3, 0x100, v1
	v_mov_b32_e32 v0, s3
	v_lshlrev_b64 v[3:4], 3, v[3:4]
	v_add_co_u32_e32 v15, vcc, s2, v15
	v_mov_b32_e32 v14, v2
	v_or_b32_e32 v13, 0x200, v1
	v_or_b32_e32 v1, 0x300, v1
	v_addc_co_u32_e32 v16, vcc, v0, v16, vcc
	v_mov_b32_e32 v17, s3
	v_lshlrev_b64 v[13:14], 3, v[13:14]
	v_lshlrev_b64 v[0:1], 3, v[1:2]
	v_add_co_u32_e32 v2, vcc, s2, v3
	v_addc_co_u32_e32 v3, vcc, v17, v4, vcc
	v_mov_b32_e32 v18, s3
	v_add_co_u32_e32 v13, vcc, s2, v13
	v_addc_co_u32_e32 v14, vcc, v18, v14, vcc
	v_mov_b32_e32 v4, s3
	v_add_co_u32_e32 v0, vcc, s2, v0
	v_addc_co_u32_e32 v1, vcc, v4, v1, vcc
	s_waitcnt vmcnt(3)
	global_store_dwordx2 v[15:16], v[5:6], off
	s_waitcnt vmcnt(3)
	global_store_dwordx2 v[2:3], v[7:8], off
	;; [unrolled: 2-line block ×4, first 2 shown]
	s_endpgm
	.section	.rodata,"a",@progbits
	.p2align	6, 0x0
	.amdhsa_kernel _Z16warp_load_kernelILj256ELj4ELj32ELN6hipcub17WarpLoadAlgorithmE1EdEvPT3_S3_
		.amdhsa_group_segment_fixed_size 0
		.amdhsa_private_segment_fixed_size 0
		.amdhsa_kernarg_size 16
		.amdhsa_user_sgpr_count 6
		.amdhsa_user_sgpr_private_segment_buffer 1
		.amdhsa_user_sgpr_dispatch_ptr 0
		.amdhsa_user_sgpr_queue_ptr 0
		.amdhsa_user_sgpr_kernarg_segment_ptr 1
		.amdhsa_user_sgpr_dispatch_id 0
		.amdhsa_user_sgpr_flat_scratch_init 0
		.amdhsa_user_sgpr_private_segment_size 0
		.amdhsa_uses_dynamic_stack 0
		.amdhsa_system_sgpr_private_segment_wavefront_offset 0
		.amdhsa_system_sgpr_workgroup_id_x 1
		.amdhsa_system_sgpr_workgroup_id_y 0
		.amdhsa_system_sgpr_workgroup_id_z 0
		.amdhsa_system_sgpr_workgroup_info 0
		.amdhsa_system_vgpr_workitem_id 0
		.amdhsa_next_free_vgpr 19
		.amdhsa_next_free_sgpr 7
		.amdhsa_reserve_vcc 1
		.amdhsa_reserve_flat_scratch 0
		.amdhsa_float_round_mode_32 0
		.amdhsa_float_round_mode_16_64 0
		.amdhsa_float_denorm_mode_32 3
		.amdhsa_float_denorm_mode_16_64 3
		.amdhsa_dx10_clamp 1
		.amdhsa_ieee_mode 1
		.amdhsa_fp16_overflow 0
		.amdhsa_exception_fp_ieee_invalid_op 0
		.amdhsa_exception_fp_denorm_src 0
		.amdhsa_exception_fp_ieee_div_zero 0
		.amdhsa_exception_fp_ieee_overflow 0
		.amdhsa_exception_fp_ieee_underflow 0
		.amdhsa_exception_fp_ieee_inexact 0
		.amdhsa_exception_int_div_zero 0
	.end_amdhsa_kernel
	.section	.text._Z16warp_load_kernelILj256ELj4ELj32ELN6hipcub17WarpLoadAlgorithmE1EdEvPT3_S3_,"axG",@progbits,_Z16warp_load_kernelILj256ELj4ELj32ELN6hipcub17WarpLoadAlgorithmE1EdEvPT3_S3_,comdat
.Lfunc_end20:
	.size	_Z16warp_load_kernelILj256ELj4ELj32ELN6hipcub17WarpLoadAlgorithmE1EdEvPT3_S3_, .Lfunc_end20-_Z16warp_load_kernelILj256ELj4ELj32ELN6hipcub17WarpLoadAlgorithmE1EdEvPT3_S3_
                                        ; -- End function
	.set _Z16warp_load_kernelILj256ELj4ELj32ELN6hipcub17WarpLoadAlgorithmE1EdEvPT3_S3_.num_vgpr, 19
	.set _Z16warp_load_kernelILj256ELj4ELj32ELN6hipcub17WarpLoadAlgorithmE1EdEvPT3_S3_.num_agpr, 0
	.set _Z16warp_load_kernelILj256ELj4ELj32ELN6hipcub17WarpLoadAlgorithmE1EdEvPT3_S3_.numbered_sgpr, 7
	.set _Z16warp_load_kernelILj256ELj4ELj32ELN6hipcub17WarpLoadAlgorithmE1EdEvPT3_S3_.num_named_barrier, 0
	.set _Z16warp_load_kernelILj256ELj4ELj32ELN6hipcub17WarpLoadAlgorithmE1EdEvPT3_S3_.private_seg_size, 0
	.set _Z16warp_load_kernelILj256ELj4ELj32ELN6hipcub17WarpLoadAlgorithmE1EdEvPT3_S3_.uses_vcc, 1
	.set _Z16warp_load_kernelILj256ELj4ELj32ELN6hipcub17WarpLoadAlgorithmE1EdEvPT3_S3_.uses_flat_scratch, 0
	.set _Z16warp_load_kernelILj256ELj4ELj32ELN6hipcub17WarpLoadAlgorithmE1EdEvPT3_S3_.has_dyn_sized_stack, 0
	.set _Z16warp_load_kernelILj256ELj4ELj32ELN6hipcub17WarpLoadAlgorithmE1EdEvPT3_S3_.has_recursion, 0
	.set _Z16warp_load_kernelILj256ELj4ELj32ELN6hipcub17WarpLoadAlgorithmE1EdEvPT3_S3_.has_indirect_call, 0
	.section	.AMDGPU.csdata,"",@progbits
; Kernel info:
; codeLenInByte = 288
; TotalNumSgprs: 11
; NumVgprs: 19
; ScratchSize: 0
; MemoryBound: 0
; FloatMode: 240
; IeeeMode: 1
; LDSByteSize: 0 bytes/workgroup (compile time only)
; SGPRBlocks: 1
; VGPRBlocks: 4
; NumSGPRsForWavesPerEU: 11
; NumVGPRsForWavesPerEU: 19
; Occupancy: 10
; WaveLimiterHint : 1
; COMPUTE_PGM_RSRC2:SCRATCH_EN: 0
; COMPUTE_PGM_RSRC2:USER_SGPR: 6
; COMPUTE_PGM_RSRC2:TRAP_HANDLER: 0
; COMPUTE_PGM_RSRC2:TGID_X_EN: 1
; COMPUTE_PGM_RSRC2:TGID_Y_EN: 0
; COMPUTE_PGM_RSRC2:TGID_Z_EN: 0
; COMPUTE_PGM_RSRC2:TIDIG_COMP_CNT: 0
	.section	.text._Z16warp_load_kernelILj256ELj4ELj32ELN6hipcub17WarpLoadAlgorithmE2EdEvPT3_S3_,"axG",@progbits,_Z16warp_load_kernelILj256ELj4ELj32ELN6hipcub17WarpLoadAlgorithmE2EdEvPT3_S3_,comdat
	.protected	_Z16warp_load_kernelILj256ELj4ELj32ELN6hipcub17WarpLoadAlgorithmE2EdEvPT3_S3_ ; -- Begin function _Z16warp_load_kernelILj256ELj4ELj32ELN6hipcub17WarpLoadAlgorithmE2EdEvPT3_S3_
	.globl	_Z16warp_load_kernelILj256ELj4ELj32ELN6hipcub17WarpLoadAlgorithmE2EdEvPT3_S3_
	.p2align	8
	.type	_Z16warp_load_kernelILj256ELj4ELj32ELN6hipcub17WarpLoadAlgorithmE2EdEvPT3_S3_,@function
_Z16warp_load_kernelILj256ELj4ELj32ELN6hipcub17WarpLoadAlgorithmE2EdEvPT3_S3_: ; @_Z16warp_load_kernelILj256ELj4ELj32ELN6hipcub17WarpLoadAlgorithmE2EdEvPT3_S3_
; %bb.0:
	v_mbcnt_lo_u32_b32 v1, -1, 0
	s_load_dwordx4 s[0:3], s[4:5], 0x0
	v_mbcnt_hi_u32_b32 v3, -1, v1
	v_lshlrev_b32_e32 v1, 2, v0
	s_lshl_b32 s4, s6, 10
	v_and_b32_e32 v1, 0x380, v1
	v_or_b32_e32 v9, s4, v1
	v_mov_b32_e32 v10, 0
	v_lshlrev_b64 v[1:2], 3, v[9:10]
	s_waitcnt lgkmcnt(0)
	v_mov_b32_e32 v4, s1
	v_add_co_u32_e32 v1, vcc, s0, v1
	v_lshlrev_b32_e32 v3, 5, v3
	v_addc_co_u32_e32 v2, vcc, v4, v2, vcc
	v_and_b32_e32 v3, 0x3e0, v3
	v_add_co_u32_e32 v11, vcc, v1, v3
	v_addc_co_u32_e32 v12, vcc, 0, v2, vcc
	global_load_dwordx4 v[1:4], v[11:12], off
	global_load_dwordx4 v[5:8], v[11:12], off offset:16
	v_or_b32_e32 v9, s4, v0
	v_lshlrev_b64 v[15:16], 3, v[9:10]
	v_mov_b32_e32 v12, v10
	v_or_b32_e32 v11, 0x100, v9
	v_mov_b32_e32 v0, s3
	v_lshlrev_b64 v[11:12], 3, v[11:12]
	v_add_co_u32_e32 v15, vcc, s2, v15
	v_mov_b32_e32 v14, v10
	v_or_b32_e32 v13, 0x200, v9
	v_addc_co_u32_e32 v16, vcc, v0, v16, vcc
	v_mov_b32_e32 v17, s3
	v_lshlrev_b64 v[13:14], 3, v[13:14]
	v_add_co_u32_e32 v11, vcc, s2, v11
	v_or_b32_e32 v9, 0x300, v9
	v_addc_co_u32_e32 v12, vcc, v17, v12, vcc
	v_lshlrev_b64 v[9:10], 3, v[9:10]
	v_add_co_u32_e32 v13, vcc, s2, v13
	v_addc_co_u32_e32 v14, vcc, v0, v14, vcc
	v_add_co_u32_e32 v9, vcc, s2, v9
	v_addc_co_u32_e32 v10, vcc, v17, v10, vcc
	s_waitcnt vmcnt(1)
	global_store_dwordx2 v[15:16], v[1:2], off
	global_store_dwordx2 v[11:12], v[3:4], off
	s_waitcnt vmcnt(2)
	global_store_dwordx2 v[13:14], v[5:6], off
	global_store_dwordx2 v[9:10], v[7:8], off
	s_endpgm
	.section	.rodata,"a",@progbits
	.p2align	6, 0x0
	.amdhsa_kernel _Z16warp_load_kernelILj256ELj4ELj32ELN6hipcub17WarpLoadAlgorithmE2EdEvPT3_S3_
		.amdhsa_group_segment_fixed_size 0
		.amdhsa_private_segment_fixed_size 0
		.amdhsa_kernarg_size 16
		.amdhsa_user_sgpr_count 6
		.amdhsa_user_sgpr_private_segment_buffer 1
		.amdhsa_user_sgpr_dispatch_ptr 0
		.amdhsa_user_sgpr_queue_ptr 0
		.amdhsa_user_sgpr_kernarg_segment_ptr 1
		.amdhsa_user_sgpr_dispatch_id 0
		.amdhsa_user_sgpr_flat_scratch_init 0
		.amdhsa_user_sgpr_private_segment_size 0
		.amdhsa_uses_dynamic_stack 0
		.amdhsa_system_sgpr_private_segment_wavefront_offset 0
		.amdhsa_system_sgpr_workgroup_id_x 1
		.amdhsa_system_sgpr_workgroup_id_y 0
		.amdhsa_system_sgpr_workgroup_id_z 0
		.amdhsa_system_sgpr_workgroup_info 0
		.amdhsa_system_vgpr_workitem_id 0
		.amdhsa_next_free_vgpr 18
		.amdhsa_next_free_sgpr 7
		.amdhsa_reserve_vcc 1
		.amdhsa_reserve_flat_scratch 0
		.amdhsa_float_round_mode_32 0
		.amdhsa_float_round_mode_16_64 0
		.amdhsa_float_denorm_mode_32 3
		.amdhsa_float_denorm_mode_16_64 3
		.amdhsa_dx10_clamp 1
		.amdhsa_ieee_mode 1
		.amdhsa_fp16_overflow 0
		.amdhsa_exception_fp_ieee_invalid_op 0
		.amdhsa_exception_fp_denorm_src 0
		.amdhsa_exception_fp_ieee_div_zero 0
		.amdhsa_exception_fp_ieee_overflow 0
		.amdhsa_exception_fp_ieee_underflow 0
		.amdhsa_exception_fp_ieee_inexact 0
		.amdhsa_exception_int_div_zero 0
	.end_amdhsa_kernel
	.section	.text._Z16warp_load_kernelILj256ELj4ELj32ELN6hipcub17WarpLoadAlgorithmE2EdEvPT3_S3_,"axG",@progbits,_Z16warp_load_kernelILj256ELj4ELj32ELN6hipcub17WarpLoadAlgorithmE2EdEvPT3_S3_,comdat
.Lfunc_end21:
	.size	_Z16warp_load_kernelILj256ELj4ELj32ELN6hipcub17WarpLoadAlgorithmE2EdEvPT3_S3_, .Lfunc_end21-_Z16warp_load_kernelILj256ELj4ELj32ELN6hipcub17WarpLoadAlgorithmE2EdEvPT3_S3_
                                        ; -- End function
	.set _Z16warp_load_kernelILj256ELj4ELj32ELN6hipcub17WarpLoadAlgorithmE2EdEvPT3_S3_.num_vgpr, 18
	.set _Z16warp_load_kernelILj256ELj4ELj32ELN6hipcub17WarpLoadAlgorithmE2EdEvPT3_S3_.num_agpr, 0
	.set _Z16warp_load_kernelILj256ELj4ELj32ELN6hipcub17WarpLoadAlgorithmE2EdEvPT3_S3_.numbered_sgpr, 7
	.set _Z16warp_load_kernelILj256ELj4ELj32ELN6hipcub17WarpLoadAlgorithmE2EdEvPT3_S3_.num_named_barrier, 0
	.set _Z16warp_load_kernelILj256ELj4ELj32ELN6hipcub17WarpLoadAlgorithmE2EdEvPT3_S3_.private_seg_size, 0
	.set _Z16warp_load_kernelILj256ELj4ELj32ELN6hipcub17WarpLoadAlgorithmE2EdEvPT3_S3_.uses_vcc, 1
	.set _Z16warp_load_kernelILj256ELj4ELj32ELN6hipcub17WarpLoadAlgorithmE2EdEvPT3_S3_.uses_flat_scratch, 0
	.set _Z16warp_load_kernelILj256ELj4ELj32ELN6hipcub17WarpLoadAlgorithmE2EdEvPT3_S3_.has_dyn_sized_stack, 0
	.set _Z16warp_load_kernelILj256ELj4ELj32ELN6hipcub17WarpLoadAlgorithmE2EdEvPT3_S3_.has_recursion, 0
	.set _Z16warp_load_kernelILj256ELj4ELj32ELN6hipcub17WarpLoadAlgorithmE2EdEvPT3_S3_.has_indirect_call, 0
	.section	.AMDGPU.csdata,"",@progbits
; Kernel info:
; codeLenInByte = 260
; TotalNumSgprs: 11
; NumVgprs: 18
; ScratchSize: 0
; MemoryBound: 0
; FloatMode: 240
; IeeeMode: 1
; LDSByteSize: 0 bytes/workgroup (compile time only)
; SGPRBlocks: 1
; VGPRBlocks: 4
; NumSGPRsForWavesPerEU: 11
; NumVGPRsForWavesPerEU: 18
; Occupancy: 10
; WaveLimiterHint : 0
; COMPUTE_PGM_RSRC2:SCRATCH_EN: 0
; COMPUTE_PGM_RSRC2:USER_SGPR: 6
; COMPUTE_PGM_RSRC2:TRAP_HANDLER: 0
; COMPUTE_PGM_RSRC2:TGID_X_EN: 1
; COMPUTE_PGM_RSRC2:TGID_Y_EN: 0
; COMPUTE_PGM_RSRC2:TGID_Z_EN: 0
; COMPUTE_PGM_RSRC2:TIDIG_COMP_CNT: 0
	.section	.text._Z16warp_load_kernelILj256ELj4ELj32ELN6hipcub17WarpLoadAlgorithmE3EdEvPT3_S3_,"axG",@progbits,_Z16warp_load_kernelILj256ELj4ELj32ELN6hipcub17WarpLoadAlgorithmE3EdEvPT3_S3_,comdat
	.protected	_Z16warp_load_kernelILj256ELj4ELj32ELN6hipcub17WarpLoadAlgorithmE3EdEvPT3_S3_ ; -- Begin function _Z16warp_load_kernelILj256ELj4ELj32ELN6hipcub17WarpLoadAlgorithmE3EdEvPT3_S3_
	.globl	_Z16warp_load_kernelILj256ELj4ELj32ELN6hipcub17WarpLoadAlgorithmE3EdEvPT3_S3_
	.p2align	8
	.type	_Z16warp_load_kernelILj256ELj4ELj32ELN6hipcub17WarpLoadAlgorithmE3EdEvPT3_S3_,@function
_Z16warp_load_kernelILj256ELj4ELj32ELN6hipcub17WarpLoadAlgorithmE3EdEvPT3_S3_: ; @_Z16warp_load_kernelILj256ELj4ELj32ELN6hipcub17WarpLoadAlgorithmE3EdEvPT3_S3_
; %bb.0:
	s_load_dwordx4 s[0:3], s[4:5], 0x0
	v_mbcnt_lo_u32_b32 v1, -1, 0
	v_lshrrev_b32_e32 v13, 5, v0
	v_mbcnt_hi_u32_b32 v1, -1, v1
	s_lshl_b32 s4, s6, 10
	v_and_b32_e32 v15, 31, v1
	v_lshl_or_b32 v1, v13, 7, s4
	v_mov_b32_e32 v2, 0
	v_lshlrev_b64 v[3:4], 3, v[1:2]
	s_waitcnt lgkmcnt(0)
	v_mov_b32_e32 v1, s1
	v_add_co_u32_e32 v3, vcc, s0, v3
	v_addc_co_u32_e32 v1, vcc, v1, v4, vcc
	v_lshlrev_b32_e32 v16, 3, v15
	v_add_co_u32_e32 v3, vcc, v3, v16
	v_addc_co_u32_e32 v4, vcc, 0, v1, vcc
	global_load_dwordx2 v[5:6], v[3:4], off
	global_load_dwordx2 v[7:8], v[3:4], off offset:256
	global_load_dwordx2 v[9:10], v[3:4], off offset:512
	;; [unrolled: 1-line block ×3, first 2 shown]
	v_lshlrev_b32_e32 v3, 10, v13
	v_or_b32_e32 v1, s4, v0
	v_lshl_or_b32 v21, v15, 5, v3
	v_or_b32_e32 v0, v3, v16
	v_lshlrev_b64 v[15:16], 3, v[1:2]
	v_mov_b32_e32 v4, v2
	v_or_b32_e32 v3, 0x100, v1
	v_or_b32_e32 v13, 0x200, v1
	v_or_b32_e32 v1, 0x300, v1
	v_lshlrev_b64 v[3:4], 3, v[3:4]
	v_lshlrev_b64 v[17:18], 3, v[1:2]
	v_mov_b32_e32 v1, s3
	v_add_co_u32_e32 v15, vcc, s2, v15
	v_addc_co_u32_e32 v16, vcc, v1, v16, vcc
	v_mov_b32_e32 v14, v2
	v_mov_b32_e32 v2, s3
	v_add_co_u32_e32 v19, vcc, s2, v3
	v_lshlrev_b64 v[13:14], 3, v[13:14]
	v_addc_co_u32_e32 v20, vcc, v2, v4, vcc
	v_mov_b32_e32 v22, s3
	v_add_co_u32_e32 v13, vcc, s2, v13
	v_addc_co_u32_e32 v14, vcc, v22, v14, vcc
	v_mov_b32_e32 v23, s3
	s_waitcnt vmcnt(2)
	ds_write2_b64 v0, v[5:6], v[7:8] offset1:32
	s_waitcnt vmcnt(0)
	ds_write2_b64 v0, v[9:10], v[11:12] offset0:64 offset1:96
	; wave barrier
	ds_read_b128 v[0:3], v21
	ds_read_b128 v[4:7], v21 offset:16
	v_add_co_u32_e32 v8, vcc, s2, v17
	v_addc_co_u32_e32 v9, vcc, v23, v18, vcc
	s_waitcnt lgkmcnt(1)
	global_store_dwordx2 v[15:16], v[0:1], off
	global_store_dwordx2 v[19:20], v[2:3], off
	s_waitcnt lgkmcnt(0)
	global_store_dwordx2 v[13:14], v[4:5], off
	global_store_dwordx2 v[8:9], v[6:7], off
	s_endpgm
	.section	.rodata,"a",@progbits
	.p2align	6, 0x0
	.amdhsa_kernel _Z16warp_load_kernelILj256ELj4ELj32ELN6hipcub17WarpLoadAlgorithmE3EdEvPT3_S3_
		.amdhsa_group_segment_fixed_size 8192
		.amdhsa_private_segment_fixed_size 0
		.amdhsa_kernarg_size 16
		.amdhsa_user_sgpr_count 6
		.amdhsa_user_sgpr_private_segment_buffer 1
		.amdhsa_user_sgpr_dispatch_ptr 0
		.amdhsa_user_sgpr_queue_ptr 0
		.amdhsa_user_sgpr_kernarg_segment_ptr 1
		.amdhsa_user_sgpr_dispatch_id 0
		.amdhsa_user_sgpr_flat_scratch_init 0
		.amdhsa_user_sgpr_private_segment_size 0
		.amdhsa_uses_dynamic_stack 0
		.amdhsa_system_sgpr_private_segment_wavefront_offset 0
		.amdhsa_system_sgpr_workgroup_id_x 1
		.amdhsa_system_sgpr_workgroup_id_y 0
		.amdhsa_system_sgpr_workgroup_id_z 0
		.amdhsa_system_sgpr_workgroup_info 0
		.amdhsa_system_vgpr_workitem_id 0
		.amdhsa_next_free_vgpr 29
		.amdhsa_next_free_sgpr 61
		.amdhsa_reserve_vcc 1
		.amdhsa_reserve_flat_scratch 0
		.amdhsa_float_round_mode_32 0
		.amdhsa_float_round_mode_16_64 0
		.amdhsa_float_denorm_mode_32 3
		.amdhsa_float_denorm_mode_16_64 3
		.amdhsa_dx10_clamp 1
		.amdhsa_ieee_mode 1
		.amdhsa_fp16_overflow 0
		.amdhsa_exception_fp_ieee_invalid_op 0
		.amdhsa_exception_fp_denorm_src 0
		.amdhsa_exception_fp_ieee_div_zero 0
		.amdhsa_exception_fp_ieee_overflow 0
		.amdhsa_exception_fp_ieee_underflow 0
		.amdhsa_exception_fp_ieee_inexact 0
		.amdhsa_exception_int_div_zero 0
	.end_amdhsa_kernel
	.section	.text._Z16warp_load_kernelILj256ELj4ELj32ELN6hipcub17WarpLoadAlgorithmE3EdEvPT3_S3_,"axG",@progbits,_Z16warp_load_kernelILj256ELj4ELj32ELN6hipcub17WarpLoadAlgorithmE3EdEvPT3_S3_,comdat
.Lfunc_end22:
	.size	_Z16warp_load_kernelILj256ELj4ELj32ELN6hipcub17WarpLoadAlgorithmE3EdEvPT3_S3_, .Lfunc_end22-_Z16warp_load_kernelILj256ELj4ELj32ELN6hipcub17WarpLoadAlgorithmE3EdEvPT3_S3_
                                        ; -- End function
	.set _Z16warp_load_kernelILj256ELj4ELj32ELN6hipcub17WarpLoadAlgorithmE3EdEvPT3_S3_.num_vgpr, 24
	.set _Z16warp_load_kernelILj256ELj4ELj32ELN6hipcub17WarpLoadAlgorithmE3EdEvPT3_S3_.num_agpr, 0
	.set _Z16warp_load_kernelILj256ELj4ELj32ELN6hipcub17WarpLoadAlgorithmE3EdEvPT3_S3_.numbered_sgpr, 7
	.set _Z16warp_load_kernelILj256ELj4ELj32ELN6hipcub17WarpLoadAlgorithmE3EdEvPT3_S3_.num_named_barrier, 0
	.set _Z16warp_load_kernelILj256ELj4ELj32ELN6hipcub17WarpLoadAlgorithmE3EdEvPT3_S3_.private_seg_size, 0
	.set _Z16warp_load_kernelILj256ELj4ELj32ELN6hipcub17WarpLoadAlgorithmE3EdEvPT3_S3_.uses_vcc, 1
	.set _Z16warp_load_kernelILj256ELj4ELj32ELN6hipcub17WarpLoadAlgorithmE3EdEvPT3_S3_.uses_flat_scratch, 0
	.set _Z16warp_load_kernelILj256ELj4ELj32ELN6hipcub17WarpLoadAlgorithmE3EdEvPT3_S3_.has_dyn_sized_stack, 0
	.set _Z16warp_load_kernelILj256ELj4ELj32ELN6hipcub17WarpLoadAlgorithmE3EdEvPT3_S3_.has_recursion, 0
	.set _Z16warp_load_kernelILj256ELj4ELj32ELN6hipcub17WarpLoadAlgorithmE3EdEvPT3_S3_.has_indirect_call, 0
	.section	.AMDGPU.csdata,"",@progbits
; Kernel info:
; codeLenInByte = 332
; TotalNumSgprs: 11
; NumVgprs: 24
; ScratchSize: 0
; MemoryBound: 1
; FloatMode: 240
; IeeeMode: 1
; LDSByteSize: 8192 bytes/workgroup (compile time only)
; SGPRBlocks: 8
; VGPRBlocks: 7
; NumSGPRsForWavesPerEU: 65
; NumVGPRsForWavesPerEU: 29
; Occupancy: 8
; WaveLimiterHint : 1
; COMPUTE_PGM_RSRC2:SCRATCH_EN: 0
; COMPUTE_PGM_RSRC2:USER_SGPR: 6
; COMPUTE_PGM_RSRC2:TRAP_HANDLER: 0
; COMPUTE_PGM_RSRC2:TGID_X_EN: 1
; COMPUTE_PGM_RSRC2:TGID_Y_EN: 0
; COMPUTE_PGM_RSRC2:TGID_Z_EN: 0
; COMPUTE_PGM_RSRC2:TIDIG_COMP_CNT: 0
	.section	.text._Z16warp_load_kernelILj256ELj8ELj32ELN6hipcub17WarpLoadAlgorithmE0EdEvPT3_S3_,"axG",@progbits,_Z16warp_load_kernelILj256ELj8ELj32ELN6hipcub17WarpLoadAlgorithmE0EdEvPT3_S3_,comdat
	.protected	_Z16warp_load_kernelILj256ELj8ELj32ELN6hipcub17WarpLoadAlgorithmE0EdEvPT3_S3_ ; -- Begin function _Z16warp_load_kernelILj256ELj8ELj32ELN6hipcub17WarpLoadAlgorithmE0EdEvPT3_S3_
	.globl	_Z16warp_load_kernelILj256ELj8ELj32ELN6hipcub17WarpLoadAlgorithmE0EdEvPT3_S3_
	.p2align	8
	.type	_Z16warp_load_kernelILj256ELj8ELj32ELN6hipcub17WarpLoadAlgorithmE0EdEvPT3_S3_,@function
_Z16warp_load_kernelILj256ELj8ELj32ELN6hipcub17WarpLoadAlgorithmE0EdEvPT3_S3_: ; @_Z16warp_load_kernelILj256ELj8ELj32ELN6hipcub17WarpLoadAlgorithmE0EdEvPT3_S3_
; %bb.0:
	v_mbcnt_lo_u32_b32 v1, -1, 0
	s_load_dwordx4 s[0:3], s[4:5], 0x0
	v_mbcnt_hi_u32_b32 v3, -1, v1
	v_lshlrev_b32_e32 v1, 3, v0
	s_lshl_b32 s4, s6, 11
	v_and_b32_e32 v1, 0x700, v1
	v_or_b32_e32 v17, s4, v1
	v_mov_b32_e32 v18, 0
	v_lshlrev_b64 v[1:2], 3, v[17:18]
	s_waitcnt lgkmcnt(0)
	v_mov_b32_e32 v4, s1
	v_add_co_u32_e32 v1, vcc, s0, v1
	v_lshlrev_b32_e32 v3, 6, v3
	v_addc_co_u32_e32 v2, vcc, v4, v2, vcc
	v_and_b32_e32 v3, 0x7c0, v3
	v_add_co_u32_e32 v19, vcc, v1, v3
	v_addc_co_u32_e32 v20, vcc, 0, v2, vcc
	global_load_dwordx4 v[1:4], v[19:20], off
	global_load_dwordx4 v[5:8], v[19:20], off offset:16
	v_or_b32_e32 v17, s4, v0
	v_lshlrev_b64 v[9:10], 3, v[17:18]
	v_mov_b32_e32 v0, s3
	v_add_co_u32_e32 v21, vcc, s2, v9
	v_addc_co_u32_e32 v22, vcc, v0, v10, vcc
	global_load_dwordx4 v[9:12], v[19:20], off offset:32
	global_load_dwordx4 v[13:16], v[19:20], off offset:48
	v_or_b32_e32 v0, 0x200, v17
	v_mov_b32_e32 v19, s3
	s_waitcnt vmcnt(3)
	global_store_dwordx2 v[21:22], v[1:2], off
	global_store_dwordx2 v[21:22], v[3:4], off offset:2048
	v_mov_b32_e32 v1, v18
	v_lshlrev_b64 v[0:1], 3, v[0:1]
	v_mov_b32_e32 v2, s3
	v_add_co_u32_e32 v0, vcc, s2, v0
	v_addc_co_u32_e32 v1, vcc, v2, v1, vcc
	v_mov_b32_e32 v3, v18
	v_or_b32_e32 v2, 0x300, v17
	v_lshlrev_b64 v[2:3], 3, v[2:3]
	v_mov_b32_e32 v4, s3
	v_add_co_u32_e32 v2, vcc, s2, v2
	v_addc_co_u32_e32 v3, vcc, v4, v3, vcc
	v_mov_b32_e32 v4, v18
	s_waitcnt vmcnt(4)
	global_store_dwordx2 v[2:3], v[7:8], off
	v_or_b32_e32 v3, 0x400, v17
	v_lshlrev_b64 v[2:3], 3, v[3:4]
	global_store_dwordx2 v[0:1], v[5:6], off
	v_mov_b32_e32 v1, v18
	v_or_b32_e32 v0, 0x500, v17
	v_mov_b32_e32 v7, s3
	v_lshlrev_b64 v[0:1], 3, v[0:1]
	v_add_co_u32_e32 v2, vcc, s2, v2
	v_mov_b32_e32 v6, v18
	v_or_b32_e32 v5, 0x600, v17
	v_addc_co_u32_e32 v3, vcc, v7, v3, vcc
	v_mov_b32_e32 v8, s3
	v_lshlrev_b64 v[4:5], 3, v[5:6]
	v_add_co_u32_e32 v0, vcc, s2, v0
	v_or_b32_e32 v17, 0x700, v17
	v_addc_co_u32_e32 v1, vcc, v8, v1, vcc
	v_lshlrev_b64 v[6:7], 3, v[17:18]
	v_add_co_u32_e32 v4, vcc, s2, v4
	v_addc_co_u32_e32 v5, vcc, v19, v5, vcc
	v_add_co_u32_e32 v6, vcc, s2, v6
	v_addc_co_u32_e32 v7, vcc, v8, v7, vcc
	s_waitcnt vmcnt(5)
	global_store_dwordx2 v[2:3], v[9:10], off
	global_store_dwordx2 v[0:1], v[11:12], off
	s_waitcnt vmcnt(6)
	global_store_dwordx2 v[4:5], v[13:14], off
	global_store_dwordx2 v[6:7], v[15:16], off
	s_endpgm
	.section	.rodata,"a",@progbits
	.p2align	6, 0x0
	.amdhsa_kernel _Z16warp_load_kernelILj256ELj8ELj32ELN6hipcub17WarpLoadAlgorithmE0EdEvPT3_S3_
		.amdhsa_group_segment_fixed_size 0
		.amdhsa_private_segment_fixed_size 0
		.amdhsa_kernarg_size 16
		.amdhsa_user_sgpr_count 6
		.amdhsa_user_sgpr_private_segment_buffer 1
		.amdhsa_user_sgpr_dispatch_ptr 0
		.amdhsa_user_sgpr_queue_ptr 0
		.amdhsa_user_sgpr_kernarg_segment_ptr 1
		.amdhsa_user_sgpr_dispatch_id 0
		.amdhsa_user_sgpr_flat_scratch_init 0
		.amdhsa_user_sgpr_private_segment_size 0
		.amdhsa_uses_dynamic_stack 0
		.amdhsa_system_sgpr_private_segment_wavefront_offset 0
		.amdhsa_system_sgpr_workgroup_id_x 1
		.amdhsa_system_sgpr_workgroup_id_y 0
		.amdhsa_system_sgpr_workgroup_id_z 0
		.amdhsa_system_sgpr_workgroup_info 0
		.amdhsa_system_vgpr_workitem_id 0
		.amdhsa_next_free_vgpr 23
		.amdhsa_next_free_sgpr 7
		.amdhsa_reserve_vcc 1
		.amdhsa_reserve_flat_scratch 0
		.amdhsa_float_round_mode_32 0
		.amdhsa_float_round_mode_16_64 0
		.amdhsa_float_denorm_mode_32 3
		.amdhsa_float_denorm_mode_16_64 3
		.amdhsa_dx10_clamp 1
		.amdhsa_ieee_mode 1
		.amdhsa_fp16_overflow 0
		.amdhsa_exception_fp_ieee_invalid_op 0
		.amdhsa_exception_fp_denorm_src 0
		.amdhsa_exception_fp_ieee_div_zero 0
		.amdhsa_exception_fp_ieee_overflow 0
		.amdhsa_exception_fp_ieee_underflow 0
		.amdhsa_exception_fp_ieee_inexact 0
		.amdhsa_exception_int_div_zero 0
	.end_amdhsa_kernel
	.section	.text._Z16warp_load_kernelILj256ELj8ELj32ELN6hipcub17WarpLoadAlgorithmE0EdEvPT3_S3_,"axG",@progbits,_Z16warp_load_kernelILj256ELj8ELj32ELN6hipcub17WarpLoadAlgorithmE0EdEvPT3_S3_,comdat
.Lfunc_end23:
	.size	_Z16warp_load_kernelILj256ELj8ELj32ELN6hipcub17WarpLoadAlgorithmE0EdEvPT3_S3_, .Lfunc_end23-_Z16warp_load_kernelILj256ELj8ELj32ELN6hipcub17WarpLoadAlgorithmE0EdEvPT3_S3_
                                        ; -- End function
	.set _Z16warp_load_kernelILj256ELj8ELj32ELN6hipcub17WarpLoadAlgorithmE0EdEvPT3_S3_.num_vgpr, 23
	.set _Z16warp_load_kernelILj256ELj8ELj32ELN6hipcub17WarpLoadAlgorithmE0EdEvPT3_S3_.num_agpr, 0
	.set _Z16warp_load_kernelILj256ELj8ELj32ELN6hipcub17WarpLoadAlgorithmE0EdEvPT3_S3_.numbered_sgpr, 7
	.set _Z16warp_load_kernelILj256ELj8ELj32ELN6hipcub17WarpLoadAlgorithmE0EdEvPT3_S3_.num_named_barrier, 0
	.set _Z16warp_load_kernelILj256ELj8ELj32ELN6hipcub17WarpLoadAlgorithmE0EdEvPT3_S3_.private_seg_size, 0
	.set _Z16warp_load_kernelILj256ELj8ELj32ELN6hipcub17WarpLoadAlgorithmE0EdEvPT3_S3_.uses_vcc, 1
	.set _Z16warp_load_kernelILj256ELj8ELj32ELN6hipcub17WarpLoadAlgorithmE0EdEvPT3_S3_.uses_flat_scratch, 0
	.set _Z16warp_load_kernelILj256ELj8ELj32ELN6hipcub17WarpLoadAlgorithmE0EdEvPT3_S3_.has_dyn_sized_stack, 0
	.set _Z16warp_load_kernelILj256ELj8ELj32ELN6hipcub17WarpLoadAlgorithmE0EdEvPT3_S3_.has_recursion, 0
	.set _Z16warp_load_kernelILj256ELj8ELj32ELN6hipcub17WarpLoadAlgorithmE0EdEvPT3_S3_.has_indirect_call, 0
	.section	.AMDGPU.csdata,"",@progbits
; Kernel info:
; codeLenInByte = 416
; TotalNumSgprs: 11
; NumVgprs: 23
; ScratchSize: 0
; MemoryBound: 0
; FloatMode: 240
; IeeeMode: 1
; LDSByteSize: 0 bytes/workgroup (compile time only)
; SGPRBlocks: 1
; VGPRBlocks: 5
; NumSGPRsForWavesPerEU: 11
; NumVGPRsForWavesPerEU: 23
; Occupancy: 10
; WaveLimiterHint : 1
; COMPUTE_PGM_RSRC2:SCRATCH_EN: 0
; COMPUTE_PGM_RSRC2:USER_SGPR: 6
; COMPUTE_PGM_RSRC2:TRAP_HANDLER: 0
; COMPUTE_PGM_RSRC2:TGID_X_EN: 1
; COMPUTE_PGM_RSRC2:TGID_Y_EN: 0
; COMPUTE_PGM_RSRC2:TGID_Z_EN: 0
; COMPUTE_PGM_RSRC2:TIDIG_COMP_CNT: 0
	.section	.text._Z16warp_load_kernelILj256ELj8ELj32ELN6hipcub17WarpLoadAlgorithmE1EdEvPT3_S3_,"axG",@progbits,_Z16warp_load_kernelILj256ELj8ELj32ELN6hipcub17WarpLoadAlgorithmE1EdEvPT3_S3_,comdat
	.protected	_Z16warp_load_kernelILj256ELj8ELj32ELN6hipcub17WarpLoadAlgorithmE1EdEvPT3_S3_ ; -- Begin function _Z16warp_load_kernelILj256ELj8ELj32ELN6hipcub17WarpLoadAlgorithmE1EdEvPT3_S3_
	.globl	_Z16warp_load_kernelILj256ELj8ELj32ELN6hipcub17WarpLoadAlgorithmE1EdEvPT3_S3_
	.p2align	8
	.type	_Z16warp_load_kernelILj256ELj8ELj32ELN6hipcub17WarpLoadAlgorithmE1EdEvPT3_S3_,@function
_Z16warp_load_kernelILj256ELj8ELj32ELN6hipcub17WarpLoadAlgorithmE1EdEvPT3_S3_: ; @_Z16warp_load_kernelILj256ELj8ELj32ELN6hipcub17WarpLoadAlgorithmE1EdEvPT3_S3_
; %bb.0:
	v_mbcnt_lo_u32_b32 v1, -1, 0
	v_mbcnt_hi_u32_b32 v1, -1, v1
	s_load_dwordx4 s[0:3], s[4:5], 0x0
	v_and_b32_e32 v5, 31, v1
	v_lshlrev_b32_e32 v1, 3, v0
	s_lshl_b32 s4, s6, 11
	v_and_b32_e32 v1, 0x700, v1
	v_or_b32_e32 v1, s4, v1
	v_mov_b32_e32 v2, 0
	v_lshlrev_b64 v[3:4], 3, v[1:2]
	s_waitcnt lgkmcnt(0)
	v_mov_b32_e32 v1, s1
	v_add_co_u32_e32 v3, vcc, s0, v3
	v_addc_co_u32_e32 v1, vcc, v1, v4, vcc
	v_lshlrev_b32_e32 v4, 3, v5
	v_add_co_u32_e32 v3, vcc, v3, v4
	v_addc_co_u32_e32 v4, vcc, 0, v1, vcc
	global_load_dwordx2 v[5:6], v[3:4], off
	global_load_dwordx2 v[7:8], v[3:4], off offset:256
	global_load_dwordx2 v[9:10], v[3:4], off offset:512
	global_load_dwordx2 v[11:12], v[3:4], off offset:768
	v_or_b32_e32 v1, s4, v0
	v_lshlrev_b64 v[15:16], 3, v[1:2]
	v_mov_b32_e32 v14, v2
	v_or_b32_e32 v13, 0x200, v1
	v_mov_b32_e32 v0, s3
	v_lshlrev_b64 v[13:14], 3, v[13:14]
	v_add_co_u32_e32 v15, vcc, s2, v15
	v_addc_co_u32_e32 v16, vcc, v0, v16, vcc
	v_mov_b32_e32 v17, s3
	v_add_co_u32_e32 v13, vcc, s2, v13
	v_addc_co_u32_e32 v14, vcc, v17, v14, vcc
	global_load_dwordx2 v[17:18], v[3:4], off offset:1024
	global_load_dwordx2 v[19:20], v[3:4], off offset:1280
	;; [unrolled: 1-line block ×4, first 2 shown]
	v_mov_b32_e32 v4, v2
	v_or_b32_e32 v3, 0x300, v1
	v_lshlrev_b64 v[3:4], 3, v[3:4]
	s_waitcnt vmcnt(7)
	global_store_dwordx2 v[15:16], v[5:6], off
	s_waitcnt vmcnt(7)
	global_store_dwordx2 v[15:16], v[7:8], off offset:2048
	v_mov_b32_e32 v6, v2
	v_or_b32_e32 v5, 0x400, v1
	v_add_co_u32_e32 v3, vcc, s2, v3
	v_lshlrev_b64 v[5:6], 3, v[5:6]
	v_addc_co_u32_e32 v4, vcc, v0, v4, vcc
	v_mov_b32_e32 v8, v2
	v_or_b32_e32 v7, 0x500, v1
	s_waitcnt vmcnt(6)
	global_store_dwordx2 v[3:4], v[11:12], off
	v_lshlrev_b64 v[3:4], 3, v[7:8]
	v_add_co_u32_e32 v5, vcc, s2, v5
	global_store_dwordx2 v[13:14], v[9:10], off
	v_mov_b32_e32 v10, v2
	v_or_b32_e32 v9, 0x600, v1
	v_or_b32_e32 v1, 0x700, v1
	v_addc_co_u32_e32 v6, vcc, v0, v6, vcc
	v_mov_b32_e32 v11, s3
	v_lshlrev_b64 v[7:8], 3, v[9:10]
	v_lshlrev_b64 v[0:1], 3, v[1:2]
	v_add_co_u32_e32 v2, vcc, s2, v3
	v_addc_co_u32_e32 v3, vcc, v11, v4, vcc
	v_mov_b32_e32 v9, s3
	v_add_co_u32_e32 v7, vcc, s2, v7
	v_addc_co_u32_e32 v8, vcc, v9, v8, vcc
	v_mov_b32_e32 v4, s3
	v_add_co_u32_e32 v0, vcc, s2, v0
	v_addc_co_u32_e32 v1, vcc, v4, v1, vcc
	s_waitcnt vmcnt(7)
	global_store_dwordx2 v[5:6], v[17:18], off
	s_waitcnt vmcnt(7)
	global_store_dwordx2 v[2:3], v[19:20], off
	;; [unrolled: 2-line block ×4, first 2 shown]
	s_endpgm
	.section	.rodata,"a",@progbits
	.p2align	6, 0x0
	.amdhsa_kernel _Z16warp_load_kernelILj256ELj8ELj32ELN6hipcub17WarpLoadAlgorithmE1EdEvPT3_S3_
		.amdhsa_group_segment_fixed_size 0
		.amdhsa_private_segment_fixed_size 0
		.amdhsa_kernarg_size 16
		.amdhsa_user_sgpr_count 6
		.amdhsa_user_sgpr_private_segment_buffer 1
		.amdhsa_user_sgpr_dispatch_ptr 0
		.amdhsa_user_sgpr_queue_ptr 0
		.amdhsa_user_sgpr_kernarg_segment_ptr 1
		.amdhsa_user_sgpr_dispatch_id 0
		.amdhsa_user_sgpr_flat_scratch_init 0
		.amdhsa_user_sgpr_private_segment_size 0
		.amdhsa_uses_dynamic_stack 0
		.amdhsa_system_sgpr_private_segment_wavefront_offset 0
		.amdhsa_system_sgpr_workgroup_id_x 1
		.amdhsa_system_sgpr_workgroup_id_y 0
		.amdhsa_system_sgpr_workgroup_id_z 0
		.amdhsa_system_sgpr_workgroup_info 0
		.amdhsa_system_vgpr_workitem_id 0
		.amdhsa_next_free_vgpr 25
		.amdhsa_next_free_sgpr 7
		.amdhsa_reserve_vcc 1
		.amdhsa_reserve_flat_scratch 0
		.amdhsa_float_round_mode_32 0
		.amdhsa_float_round_mode_16_64 0
		.amdhsa_float_denorm_mode_32 3
		.amdhsa_float_denorm_mode_16_64 3
		.amdhsa_dx10_clamp 1
		.amdhsa_ieee_mode 1
		.amdhsa_fp16_overflow 0
		.amdhsa_exception_fp_ieee_invalid_op 0
		.amdhsa_exception_fp_denorm_src 0
		.amdhsa_exception_fp_ieee_div_zero 0
		.amdhsa_exception_fp_ieee_overflow 0
		.amdhsa_exception_fp_ieee_underflow 0
		.amdhsa_exception_fp_ieee_inexact 0
		.amdhsa_exception_int_div_zero 0
	.end_amdhsa_kernel
	.section	.text._Z16warp_load_kernelILj256ELj8ELj32ELN6hipcub17WarpLoadAlgorithmE1EdEvPT3_S3_,"axG",@progbits,_Z16warp_load_kernelILj256ELj8ELj32ELN6hipcub17WarpLoadAlgorithmE1EdEvPT3_S3_,comdat
.Lfunc_end24:
	.size	_Z16warp_load_kernelILj256ELj8ELj32ELN6hipcub17WarpLoadAlgorithmE1EdEvPT3_S3_, .Lfunc_end24-_Z16warp_load_kernelILj256ELj8ELj32ELN6hipcub17WarpLoadAlgorithmE1EdEvPT3_S3_
                                        ; -- End function
	.set _Z16warp_load_kernelILj256ELj8ELj32ELN6hipcub17WarpLoadAlgorithmE1EdEvPT3_S3_.num_vgpr, 25
	.set _Z16warp_load_kernelILj256ELj8ELj32ELN6hipcub17WarpLoadAlgorithmE1EdEvPT3_S3_.num_agpr, 0
	.set _Z16warp_load_kernelILj256ELj8ELj32ELN6hipcub17WarpLoadAlgorithmE1EdEvPT3_S3_.numbered_sgpr, 7
	.set _Z16warp_load_kernelILj256ELj8ELj32ELN6hipcub17WarpLoadAlgorithmE1EdEvPT3_S3_.num_named_barrier, 0
	.set _Z16warp_load_kernelILj256ELj8ELj32ELN6hipcub17WarpLoadAlgorithmE1EdEvPT3_S3_.private_seg_size, 0
	.set _Z16warp_load_kernelILj256ELj8ELj32ELN6hipcub17WarpLoadAlgorithmE1EdEvPT3_S3_.uses_vcc, 1
	.set _Z16warp_load_kernelILj256ELj8ELj32ELN6hipcub17WarpLoadAlgorithmE1EdEvPT3_S3_.uses_flat_scratch, 0
	.set _Z16warp_load_kernelILj256ELj8ELj32ELN6hipcub17WarpLoadAlgorithmE1EdEvPT3_S3_.has_dyn_sized_stack, 0
	.set _Z16warp_load_kernelILj256ELj8ELj32ELN6hipcub17WarpLoadAlgorithmE1EdEvPT3_S3_.has_recursion, 0
	.set _Z16warp_load_kernelILj256ELj8ELj32ELN6hipcub17WarpLoadAlgorithmE1EdEvPT3_S3_.has_indirect_call, 0
	.section	.AMDGPU.csdata,"",@progbits
; Kernel info:
; codeLenInByte = 452
; TotalNumSgprs: 11
; NumVgprs: 25
; ScratchSize: 0
; MemoryBound: 1
; FloatMode: 240
; IeeeMode: 1
; LDSByteSize: 0 bytes/workgroup (compile time only)
; SGPRBlocks: 1
; VGPRBlocks: 6
; NumSGPRsForWavesPerEU: 11
; NumVGPRsForWavesPerEU: 25
; Occupancy: 9
; WaveLimiterHint : 1
; COMPUTE_PGM_RSRC2:SCRATCH_EN: 0
; COMPUTE_PGM_RSRC2:USER_SGPR: 6
; COMPUTE_PGM_RSRC2:TRAP_HANDLER: 0
; COMPUTE_PGM_RSRC2:TGID_X_EN: 1
; COMPUTE_PGM_RSRC2:TGID_Y_EN: 0
; COMPUTE_PGM_RSRC2:TGID_Z_EN: 0
; COMPUTE_PGM_RSRC2:TIDIG_COMP_CNT: 0
	.section	.text._Z16warp_load_kernelILj256ELj8ELj32ELN6hipcub17WarpLoadAlgorithmE2EdEvPT3_S3_,"axG",@progbits,_Z16warp_load_kernelILj256ELj8ELj32ELN6hipcub17WarpLoadAlgorithmE2EdEvPT3_S3_,comdat
	.protected	_Z16warp_load_kernelILj256ELj8ELj32ELN6hipcub17WarpLoadAlgorithmE2EdEvPT3_S3_ ; -- Begin function _Z16warp_load_kernelILj256ELj8ELj32ELN6hipcub17WarpLoadAlgorithmE2EdEvPT3_S3_
	.globl	_Z16warp_load_kernelILj256ELj8ELj32ELN6hipcub17WarpLoadAlgorithmE2EdEvPT3_S3_
	.p2align	8
	.type	_Z16warp_load_kernelILj256ELj8ELj32ELN6hipcub17WarpLoadAlgorithmE2EdEvPT3_S3_,@function
_Z16warp_load_kernelILj256ELj8ELj32ELN6hipcub17WarpLoadAlgorithmE2EdEvPT3_S3_: ; @_Z16warp_load_kernelILj256ELj8ELj32ELN6hipcub17WarpLoadAlgorithmE2EdEvPT3_S3_
; %bb.0:
	v_mbcnt_lo_u32_b32 v1, -1, 0
	s_load_dwordx4 s[0:3], s[4:5], 0x0
	v_mbcnt_hi_u32_b32 v3, -1, v1
	v_lshlrev_b32_e32 v1, 3, v0
	s_lshl_b32 s4, s6, 11
	v_and_b32_e32 v1, 0x700, v1
	v_or_b32_e32 v17, s4, v1
	v_mov_b32_e32 v18, 0
	v_lshlrev_b64 v[1:2], 3, v[17:18]
	s_waitcnt lgkmcnt(0)
	v_mov_b32_e32 v4, s1
	v_add_co_u32_e32 v1, vcc, s0, v1
	v_lshlrev_b32_e32 v3, 6, v3
	v_addc_co_u32_e32 v2, vcc, v4, v2, vcc
	v_and_b32_e32 v3, 0x7c0, v3
	v_add_co_u32_e32 v19, vcc, v1, v3
	v_addc_co_u32_e32 v20, vcc, 0, v2, vcc
	global_load_dwordx4 v[1:4], v[19:20], off
	global_load_dwordx4 v[5:8], v[19:20], off offset:16
	v_or_b32_e32 v17, s4, v0
	v_lshlrev_b64 v[9:10], 3, v[17:18]
	v_mov_b32_e32 v0, s3
	v_add_co_u32_e32 v21, vcc, s2, v9
	v_addc_co_u32_e32 v22, vcc, v0, v10, vcc
	global_load_dwordx4 v[9:12], v[19:20], off offset:32
	global_load_dwordx4 v[13:16], v[19:20], off offset:48
	v_or_b32_e32 v0, 0x200, v17
	v_mov_b32_e32 v19, s3
	s_waitcnt vmcnt(3)
	global_store_dwordx2 v[21:22], v[1:2], off
	global_store_dwordx2 v[21:22], v[3:4], off offset:2048
	v_mov_b32_e32 v1, v18
	v_lshlrev_b64 v[0:1], 3, v[0:1]
	v_mov_b32_e32 v2, s3
	v_add_co_u32_e32 v0, vcc, s2, v0
	v_addc_co_u32_e32 v1, vcc, v2, v1, vcc
	v_mov_b32_e32 v3, v18
	v_or_b32_e32 v2, 0x300, v17
	v_lshlrev_b64 v[2:3], 3, v[2:3]
	v_mov_b32_e32 v4, s3
	v_add_co_u32_e32 v2, vcc, s2, v2
	v_addc_co_u32_e32 v3, vcc, v4, v3, vcc
	v_mov_b32_e32 v4, v18
	s_waitcnt vmcnt(4)
	global_store_dwordx2 v[2:3], v[7:8], off
	v_or_b32_e32 v3, 0x400, v17
	v_lshlrev_b64 v[2:3], 3, v[3:4]
	global_store_dwordx2 v[0:1], v[5:6], off
	v_mov_b32_e32 v1, v18
	v_or_b32_e32 v0, 0x500, v17
	v_mov_b32_e32 v7, s3
	v_lshlrev_b64 v[0:1], 3, v[0:1]
	v_add_co_u32_e32 v2, vcc, s2, v2
	v_mov_b32_e32 v6, v18
	v_or_b32_e32 v5, 0x600, v17
	v_addc_co_u32_e32 v3, vcc, v7, v3, vcc
	v_mov_b32_e32 v8, s3
	v_lshlrev_b64 v[4:5], 3, v[5:6]
	v_add_co_u32_e32 v0, vcc, s2, v0
	v_or_b32_e32 v17, 0x700, v17
	v_addc_co_u32_e32 v1, vcc, v8, v1, vcc
	v_lshlrev_b64 v[6:7], 3, v[17:18]
	v_add_co_u32_e32 v4, vcc, s2, v4
	v_addc_co_u32_e32 v5, vcc, v19, v5, vcc
	v_add_co_u32_e32 v6, vcc, s2, v6
	v_addc_co_u32_e32 v7, vcc, v8, v7, vcc
	s_waitcnt vmcnt(5)
	global_store_dwordx2 v[2:3], v[9:10], off
	global_store_dwordx2 v[0:1], v[11:12], off
	s_waitcnt vmcnt(6)
	global_store_dwordx2 v[4:5], v[13:14], off
	global_store_dwordx2 v[6:7], v[15:16], off
	s_endpgm
	.section	.rodata,"a",@progbits
	.p2align	6, 0x0
	.amdhsa_kernel _Z16warp_load_kernelILj256ELj8ELj32ELN6hipcub17WarpLoadAlgorithmE2EdEvPT3_S3_
		.amdhsa_group_segment_fixed_size 0
		.amdhsa_private_segment_fixed_size 0
		.amdhsa_kernarg_size 16
		.amdhsa_user_sgpr_count 6
		.amdhsa_user_sgpr_private_segment_buffer 1
		.amdhsa_user_sgpr_dispatch_ptr 0
		.amdhsa_user_sgpr_queue_ptr 0
		.amdhsa_user_sgpr_kernarg_segment_ptr 1
		.amdhsa_user_sgpr_dispatch_id 0
		.amdhsa_user_sgpr_flat_scratch_init 0
		.amdhsa_user_sgpr_private_segment_size 0
		.amdhsa_uses_dynamic_stack 0
		.amdhsa_system_sgpr_private_segment_wavefront_offset 0
		.amdhsa_system_sgpr_workgroup_id_x 1
		.amdhsa_system_sgpr_workgroup_id_y 0
		.amdhsa_system_sgpr_workgroup_id_z 0
		.amdhsa_system_sgpr_workgroup_info 0
		.amdhsa_system_vgpr_workitem_id 0
		.amdhsa_next_free_vgpr 23
		.amdhsa_next_free_sgpr 7
		.amdhsa_reserve_vcc 1
		.amdhsa_reserve_flat_scratch 0
		.amdhsa_float_round_mode_32 0
		.amdhsa_float_round_mode_16_64 0
		.amdhsa_float_denorm_mode_32 3
		.amdhsa_float_denorm_mode_16_64 3
		.amdhsa_dx10_clamp 1
		.amdhsa_ieee_mode 1
		.amdhsa_fp16_overflow 0
		.amdhsa_exception_fp_ieee_invalid_op 0
		.amdhsa_exception_fp_denorm_src 0
		.amdhsa_exception_fp_ieee_div_zero 0
		.amdhsa_exception_fp_ieee_overflow 0
		.amdhsa_exception_fp_ieee_underflow 0
		.amdhsa_exception_fp_ieee_inexact 0
		.amdhsa_exception_int_div_zero 0
	.end_amdhsa_kernel
	.section	.text._Z16warp_load_kernelILj256ELj8ELj32ELN6hipcub17WarpLoadAlgorithmE2EdEvPT3_S3_,"axG",@progbits,_Z16warp_load_kernelILj256ELj8ELj32ELN6hipcub17WarpLoadAlgorithmE2EdEvPT3_S3_,comdat
.Lfunc_end25:
	.size	_Z16warp_load_kernelILj256ELj8ELj32ELN6hipcub17WarpLoadAlgorithmE2EdEvPT3_S3_, .Lfunc_end25-_Z16warp_load_kernelILj256ELj8ELj32ELN6hipcub17WarpLoadAlgorithmE2EdEvPT3_S3_
                                        ; -- End function
	.set _Z16warp_load_kernelILj256ELj8ELj32ELN6hipcub17WarpLoadAlgorithmE2EdEvPT3_S3_.num_vgpr, 23
	.set _Z16warp_load_kernelILj256ELj8ELj32ELN6hipcub17WarpLoadAlgorithmE2EdEvPT3_S3_.num_agpr, 0
	.set _Z16warp_load_kernelILj256ELj8ELj32ELN6hipcub17WarpLoadAlgorithmE2EdEvPT3_S3_.numbered_sgpr, 7
	.set _Z16warp_load_kernelILj256ELj8ELj32ELN6hipcub17WarpLoadAlgorithmE2EdEvPT3_S3_.num_named_barrier, 0
	.set _Z16warp_load_kernelILj256ELj8ELj32ELN6hipcub17WarpLoadAlgorithmE2EdEvPT3_S3_.private_seg_size, 0
	.set _Z16warp_load_kernelILj256ELj8ELj32ELN6hipcub17WarpLoadAlgorithmE2EdEvPT3_S3_.uses_vcc, 1
	.set _Z16warp_load_kernelILj256ELj8ELj32ELN6hipcub17WarpLoadAlgorithmE2EdEvPT3_S3_.uses_flat_scratch, 0
	.set _Z16warp_load_kernelILj256ELj8ELj32ELN6hipcub17WarpLoadAlgorithmE2EdEvPT3_S3_.has_dyn_sized_stack, 0
	.set _Z16warp_load_kernelILj256ELj8ELj32ELN6hipcub17WarpLoadAlgorithmE2EdEvPT3_S3_.has_recursion, 0
	.set _Z16warp_load_kernelILj256ELj8ELj32ELN6hipcub17WarpLoadAlgorithmE2EdEvPT3_S3_.has_indirect_call, 0
	.section	.AMDGPU.csdata,"",@progbits
; Kernel info:
; codeLenInByte = 416
; TotalNumSgprs: 11
; NumVgprs: 23
; ScratchSize: 0
; MemoryBound: 0
; FloatMode: 240
; IeeeMode: 1
; LDSByteSize: 0 bytes/workgroup (compile time only)
; SGPRBlocks: 1
; VGPRBlocks: 5
; NumSGPRsForWavesPerEU: 11
; NumVGPRsForWavesPerEU: 23
; Occupancy: 10
; WaveLimiterHint : 1
; COMPUTE_PGM_RSRC2:SCRATCH_EN: 0
; COMPUTE_PGM_RSRC2:USER_SGPR: 6
; COMPUTE_PGM_RSRC2:TRAP_HANDLER: 0
; COMPUTE_PGM_RSRC2:TGID_X_EN: 1
; COMPUTE_PGM_RSRC2:TGID_Y_EN: 0
; COMPUTE_PGM_RSRC2:TGID_Z_EN: 0
; COMPUTE_PGM_RSRC2:TIDIG_COMP_CNT: 0
	.section	.text._Z16warp_load_kernelILj256ELj8ELj32ELN6hipcub17WarpLoadAlgorithmE3EdEvPT3_S3_,"axG",@progbits,_Z16warp_load_kernelILj256ELj8ELj32ELN6hipcub17WarpLoadAlgorithmE3EdEvPT3_S3_,comdat
	.protected	_Z16warp_load_kernelILj256ELj8ELj32ELN6hipcub17WarpLoadAlgorithmE3EdEvPT3_S3_ ; -- Begin function _Z16warp_load_kernelILj256ELj8ELj32ELN6hipcub17WarpLoadAlgorithmE3EdEvPT3_S3_
	.globl	_Z16warp_load_kernelILj256ELj8ELj32ELN6hipcub17WarpLoadAlgorithmE3EdEvPT3_S3_
	.p2align	8
	.type	_Z16warp_load_kernelILj256ELj8ELj32ELN6hipcub17WarpLoadAlgorithmE3EdEvPT3_S3_,@function
_Z16warp_load_kernelILj256ELj8ELj32ELN6hipcub17WarpLoadAlgorithmE3EdEvPT3_S3_: ; @_Z16warp_load_kernelILj256ELj8ELj32ELN6hipcub17WarpLoadAlgorithmE3EdEvPT3_S3_
; %bb.0:
	s_load_dwordx4 s[0:3], s[4:5], 0x0
	v_lshrrev_b32_e32 v15, 5, v0
	v_mbcnt_lo_u32_b32 v1, -1, 0
	s_lshl_b32 s4, s6, 11
	v_mbcnt_hi_u32_b32 v1, -1, v1
	v_lshl_or_b32 v16, v15, 8, s4
	v_mov_b32_e32 v17, 0
	v_and_b32_e32 v22, 31, v1
	v_lshlrev_b64 v[1:2], 3, v[16:17]
	s_waitcnt lgkmcnt(0)
	v_mov_b32_e32 v3, s1
	v_add_co_u32_e32 v1, vcc, s0, v1
	v_addc_co_u32_e32 v2, vcc, v3, v2, vcc
	v_lshlrev_b32_e32 v24, 3, v22
	v_add_co_u32_e32 v1, vcc, v1, v24
	v_addc_co_u32_e32 v2, vcc, 0, v2, vcc
	global_load_dwordx2 v[3:4], v[1:2], off
	global_load_dwordx2 v[5:6], v[1:2], off offset:256
	global_load_dwordx2 v[7:8], v[1:2], off offset:512
	;; [unrolled: 1-line block ×7, first 2 shown]
	v_or_b32_e32 v16, s4, v0
	v_lshlrev_b64 v[30:31], 3, v[16:17]
	v_mov_b32_e32 v1, v17
	v_or_b32_e32 v0, 0x200, v16
	v_lshlrev_b32_e32 v2, 11, v15
	v_lshlrev_b64 v[0:1], 3, v[0:1]
	v_mov_b32_e32 v32, s3
	v_add_co_u32_e32 v30, vcc, s2, v30
	v_mov_b32_e32 v23, v17
	v_lshl_or_b32 v15, v22, 6, v2
	v_or_b32_e32 v22, 0x300, v16
	v_addc_co_u32_e32 v31, vcc, v32, v31, vcc
	v_lshlrev_b64 v[22:23], 3, v[22:23]
	v_mov_b32_e32 v33, s3
	v_add_co_u32_e32 v32, vcc, s2, v0
	v_mov_b32_e32 v25, v17
	v_or_b32_e32 v2, v2, v24
	v_or_b32_e32 v24, 0x400, v16
	v_addc_co_u32_e32 v33, vcc, v33, v1, vcc
	v_lshlrev_b64 v[24:25], 3, v[24:25]
	v_mov_b32_e32 v34, s3
	v_add_co_u32_e32 v22, vcc, s2, v22
	v_mov_b32_e32 v27, v17
	v_or_b32_e32 v26, 0x500, v16
	v_addc_co_u32_e32 v23, vcc, v34, v23, vcc
	v_lshlrev_b64 v[26:27], 3, v[26:27]
	v_mov_b32_e32 v35, s3
	v_add_co_u32_e32 v24, vcc, s2, v24
	v_mov_b32_e32 v29, v17
	v_or_b32_e32 v28, 0x600, v16
	v_addc_co_u32_e32 v25, vcc, v35, v25, vcc
	v_lshlrev_b64 v[28:29], 3, v[28:29]
	v_mov_b32_e32 v36, s3
	v_mov_b32_e32 v37, s3
	v_or_b32_e32 v16, 0x700, v16
	s_waitcnt vmcnt(6)
	ds_write2_b64 v2, v[3:4], v[5:6] offset1:32
	s_waitcnt vmcnt(4)
	ds_write2_b64 v2, v[7:8], v[9:10] offset0:64 offset1:96
	s_waitcnt vmcnt(2)
	ds_write2_b64 v2, v[11:12], v[13:14] offset0:128 offset1:160
	;; [unrolled: 2-line block ×3, first 2 shown]
	; wave barrier
	ds_read_b128 v[0:3], v15
	ds_read_b128 v[4:7], v15 offset:16
	ds_read_b128 v[8:11], v15 offset:32
	;; [unrolled: 1-line block ×3, first 2 shown]
	v_add_co_u32_e32 v18, vcc, s2, v26
	v_addc_co_u32_e32 v19, vcc, v36, v27, vcc
	s_waitcnt lgkmcnt(3)
	global_store_dwordx2 v[30:31], v[0:1], off
	global_store_dwordx2 v[30:31], v[2:3], off offset:2048
	s_waitcnt lgkmcnt(2)
	global_store_dwordx2 v[32:33], v[4:5], off
	global_store_dwordx2 v[22:23], v[6:7], off
	s_waitcnt lgkmcnt(1)
	global_store_dwordx2 v[24:25], v[8:9], off
	global_store_dwordx2 v[18:19], v[10:11], off
	v_add_co_u32_e32 v0, vcc, s2, v28
	v_addc_co_u32_e32 v1, vcc, v37, v29, vcc
	s_waitcnt lgkmcnt(0)
	global_store_dwordx2 v[0:1], v[12:13], off
	v_lshlrev_b64 v[0:1], 3, v[16:17]
	v_mov_b32_e32 v2, s3
	v_add_co_u32_e32 v0, vcc, s2, v0
	v_addc_co_u32_e32 v1, vcc, v2, v1, vcc
	global_store_dwordx2 v[0:1], v[14:15], off
	s_endpgm
	.section	.rodata,"a",@progbits
	.p2align	6, 0x0
	.amdhsa_kernel _Z16warp_load_kernelILj256ELj8ELj32ELN6hipcub17WarpLoadAlgorithmE3EdEvPT3_S3_
		.amdhsa_group_segment_fixed_size 16384
		.amdhsa_private_segment_fixed_size 0
		.amdhsa_kernarg_size 16
		.amdhsa_user_sgpr_count 6
		.amdhsa_user_sgpr_private_segment_buffer 1
		.amdhsa_user_sgpr_dispatch_ptr 0
		.amdhsa_user_sgpr_queue_ptr 0
		.amdhsa_user_sgpr_kernarg_segment_ptr 1
		.amdhsa_user_sgpr_dispatch_id 0
		.amdhsa_user_sgpr_flat_scratch_init 0
		.amdhsa_user_sgpr_private_segment_size 0
		.amdhsa_uses_dynamic_stack 0
		.amdhsa_system_sgpr_private_segment_wavefront_offset 0
		.amdhsa_system_sgpr_workgroup_id_x 1
		.amdhsa_system_sgpr_workgroup_id_y 0
		.amdhsa_system_sgpr_workgroup_id_z 0
		.amdhsa_system_sgpr_workgroup_info 0
		.amdhsa_system_vgpr_workitem_id 0
		.amdhsa_next_free_vgpr 49
		.amdhsa_next_free_sgpr 98
		.amdhsa_reserve_vcc 1
		.amdhsa_reserve_flat_scratch 0
		.amdhsa_float_round_mode_32 0
		.amdhsa_float_round_mode_16_64 0
		.amdhsa_float_denorm_mode_32 3
		.amdhsa_float_denorm_mode_16_64 3
		.amdhsa_dx10_clamp 1
		.amdhsa_ieee_mode 1
		.amdhsa_fp16_overflow 0
		.amdhsa_exception_fp_ieee_invalid_op 0
		.amdhsa_exception_fp_denorm_src 0
		.amdhsa_exception_fp_ieee_div_zero 0
		.amdhsa_exception_fp_ieee_overflow 0
		.amdhsa_exception_fp_ieee_underflow 0
		.amdhsa_exception_fp_ieee_inexact 0
		.amdhsa_exception_int_div_zero 0
	.end_amdhsa_kernel
	.section	.text._Z16warp_load_kernelILj256ELj8ELj32ELN6hipcub17WarpLoadAlgorithmE3EdEvPT3_S3_,"axG",@progbits,_Z16warp_load_kernelILj256ELj8ELj32ELN6hipcub17WarpLoadAlgorithmE3EdEvPT3_S3_,comdat
.Lfunc_end26:
	.size	_Z16warp_load_kernelILj256ELj8ELj32ELN6hipcub17WarpLoadAlgorithmE3EdEvPT3_S3_, .Lfunc_end26-_Z16warp_load_kernelILj256ELj8ELj32ELN6hipcub17WarpLoadAlgorithmE3EdEvPT3_S3_
                                        ; -- End function
	.set _Z16warp_load_kernelILj256ELj8ELj32ELN6hipcub17WarpLoadAlgorithmE3EdEvPT3_S3_.num_vgpr, 38
	.set _Z16warp_load_kernelILj256ELj8ELj32ELN6hipcub17WarpLoadAlgorithmE3EdEvPT3_S3_.num_agpr, 0
	.set _Z16warp_load_kernelILj256ELj8ELj32ELN6hipcub17WarpLoadAlgorithmE3EdEvPT3_S3_.numbered_sgpr, 7
	.set _Z16warp_load_kernelILj256ELj8ELj32ELN6hipcub17WarpLoadAlgorithmE3EdEvPT3_S3_.num_named_barrier, 0
	.set _Z16warp_load_kernelILj256ELj8ELj32ELN6hipcub17WarpLoadAlgorithmE3EdEvPT3_S3_.private_seg_size, 0
	.set _Z16warp_load_kernelILj256ELj8ELj32ELN6hipcub17WarpLoadAlgorithmE3EdEvPT3_S3_.uses_vcc, 1
	.set _Z16warp_load_kernelILj256ELj8ELj32ELN6hipcub17WarpLoadAlgorithmE3EdEvPT3_S3_.uses_flat_scratch, 0
	.set _Z16warp_load_kernelILj256ELj8ELj32ELN6hipcub17WarpLoadAlgorithmE3EdEvPT3_S3_.has_dyn_sized_stack, 0
	.set _Z16warp_load_kernelILj256ELj8ELj32ELN6hipcub17WarpLoadAlgorithmE3EdEvPT3_S3_.has_recursion, 0
	.set _Z16warp_load_kernelILj256ELj8ELj32ELN6hipcub17WarpLoadAlgorithmE3EdEvPT3_S3_.has_indirect_call, 0
	.section	.AMDGPU.csdata,"",@progbits
; Kernel info:
; codeLenInByte = 540
; TotalNumSgprs: 11
; NumVgprs: 38
; ScratchSize: 0
; MemoryBound: 1
; FloatMode: 240
; IeeeMode: 1
; LDSByteSize: 16384 bytes/workgroup (compile time only)
; SGPRBlocks: 12
; VGPRBlocks: 12
; NumSGPRsForWavesPerEU: 102
; NumVGPRsForWavesPerEU: 49
; Occupancy: 4
; WaveLimiterHint : 1
; COMPUTE_PGM_RSRC2:SCRATCH_EN: 0
; COMPUTE_PGM_RSRC2:USER_SGPR: 6
; COMPUTE_PGM_RSRC2:TRAP_HANDLER: 0
; COMPUTE_PGM_RSRC2:TGID_X_EN: 1
; COMPUTE_PGM_RSRC2:TGID_Y_EN: 0
; COMPUTE_PGM_RSRC2:TGID_Z_EN: 0
; COMPUTE_PGM_RSRC2:TIDIG_COMP_CNT: 0
	.section	.text._Z16warp_load_kernelILj256ELj16ELj32ELN6hipcub17WarpLoadAlgorithmE0EdEvPT3_S3_,"axG",@progbits,_Z16warp_load_kernelILj256ELj16ELj32ELN6hipcub17WarpLoadAlgorithmE0EdEvPT3_S3_,comdat
	.protected	_Z16warp_load_kernelILj256ELj16ELj32ELN6hipcub17WarpLoadAlgorithmE0EdEvPT3_S3_ ; -- Begin function _Z16warp_load_kernelILj256ELj16ELj32ELN6hipcub17WarpLoadAlgorithmE0EdEvPT3_S3_
	.globl	_Z16warp_load_kernelILj256ELj16ELj32ELN6hipcub17WarpLoadAlgorithmE0EdEvPT3_S3_
	.p2align	8
	.type	_Z16warp_load_kernelILj256ELj16ELj32ELN6hipcub17WarpLoadAlgorithmE0EdEvPT3_S3_,@function
_Z16warp_load_kernelILj256ELj16ELj32ELN6hipcub17WarpLoadAlgorithmE0EdEvPT3_S3_: ; @_Z16warp_load_kernelILj256ELj16ELj32ELN6hipcub17WarpLoadAlgorithmE0EdEvPT3_S3_
; %bb.0:
	v_mbcnt_lo_u32_b32 v1, -1, 0
	s_load_dwordx4 s[0:3], s[4:5], 0x0
	v_mbcnt_hi_u32_b32 v3, -1, v1
	v_lshlrev_b32_e32 v1, 4, v0
	s_lshl_b32 s4, s6, 12
	v_and_b32_e32 v1, 0xe00, v1
	v_or_b32_e32 v33, s4, v1
	v_mov_b32_e32 v34, 0
	v_lshlrev_b64 v[1:2], 3, v[33:34]
	s_waitcnt lgkmcnt(0)
	v_mov_b32_e32 v4, s1
	v_add_co_u32_e32 v1, vcc, s0, v1
	v_lshlrev_b32_e32 v3, 7, v3
	v_addc_co_u32_e32 v2, vcc, v4, v2, vcc
	v_and_b32_e32 v3, 0xf80, v3
	v_add_co_u32_e32 v35, vcc, v1, v3
	v_addc_co_u32_e32 v36, vcc, 0, v2, vcc
	global_load_dwordx4 v[1:4], v[35:36], off
	global_load_dwordx4 v[5:8], v[35:36], off offset:16
	global_load_dwordx4 v[9:12], v[35:36], off offset:32
	;; [unrolled: 1-line block ×4, first 2 shown]
	v_or_b32_e32 v33, s4, v0
	v_lshlrev_b64 v[21:22], 3, v[33:34]
	v_mov_b32_e32 v0, s3
	v_add_co_u32_e32 v37, vcc, s2, v21
	v_addc_co_u32_e32 v38, vcc, v0, v22, vcc
	global_load_dwordx4 v[21:24], v[35:36], off offset:80
	global_load_dwordx4 v[25:28], v[35:36], off offset:112
	;; [unrolled: 1-line block ×3, first 2 shown]
	v_or_b32_e32 v0, 0x200, v33
	s_waitcnt vmcnt(7)
	global_store_dwordx2 v[37:38], v[1:2], off
	global_store_dwordx2 v[37:38], v[3:4], off offset:2048
	v_mov_b32_e32 v1, v34
	v_lshlrev_b64 v[0:1], 3, v[0:1]
	v_mov_b32_e32 v2, s3
	v_add_co_u32_e32 v0, vcc, s2, v0
	v_addc_co_u32_e32 v1, vcc, v2, v1, vcc
	v_mov_b32_e32 v3, v34
	v_or_b32_e32 v2, 0x300, v33
	v_lshlrev_b64 v[2:3], 3, v[2:3]
	v_mov_b32_e32 v4, s3
	v_add_co_u32_e32 v2, vcc, s2, v2
	v_addc_co_u32_e32 v3, vcc, v4, v3, vcc
	v_mov_b32_e32 v4, v34
	s_waitcnt vmcnt(8)
	global_store_dwordx2 v[2:3], v[7:8], off
	v_or_b32_e32 v3, 0x400, v33
	v_lshlrev_b64 v[2:3], 3, v[3:4]
	global_store_dwordx2 v[0:1], v[5:6], off
	v_mov_b32_e32 v1, v34
	v_or_b32_e32 v0, 0x500, v33
	v_mov_b32_e32 v7, s3
	v_lshlrev_b64 v[0:1], 3, v[0:1]
	v_add_co_u32_e32 v2, vcc, s2, v2
	v_mov_b32_e32 v6, v34
	v_or_b32_e32 v5, 0x600, v33
	v_addc_co_u32_e32 v3, vcc, v7, v3, vcc
	v_mov_b32_e32 v8, s3
	v_lshlrev_b64 v[4:5], 3, v[5:6]
	v_add_co_u32_e32 v0, vcc, s2, v0
	v_addc_co_u32_e32 v1, vcc, v8, v1, vcc
	v_mov_b32_e32 v6, s3
	v_add_co_u32_e32 v4, vcc, s2, v4
	v_addc_co_u32_e32 v5, vcc, v6, v5, vcc
	v_mov_b32_e32 v7, v34
	v_or_b32_e32 v6, 0x700, v33
	v_lshlrev_b64 v[6:7], 3, v[6:7]
	s_waitcnt vmcnt(9)
	global_store_dwordx2 v[2:3], v[9:10], off
	global_store_dwordx2 v[0:1], v[11:12], off
	v_add_co_u32_e32 v0, vcc, s2, v6
	v_addc_co_u32_e32 v1, vcc, v8, v7, vcc
	s_waitcnt vmcnt(10)
	global_store_dwordx2 v[4:5], v[13:14], off
	global_store_dwordx2 v[0:1], v[15:16], off
	v_or_b32_e32 v0, 0x800, v33
	v_mov_b32_e32 v1, v34
	v_lshlrev_b64 v[0:1], 3, v[0:1]
	v_mov_b32_e32 v2, s3
	v_add_co_u32_e32 v0, vcc, s2, v0
	v_addc_co_u32_e32 v1, vcc, v2, v1, vcc
	v_or_b32_e32 v2, 0x900, v33
	v_mov_b32_e32 v3, v34
	v_lshlrev_b64 v[2:3], 3, v[2:3]
	v_mov_b32_e32 v4, s3
	v_add_co_u32_e32 v2, vcc, s2, v2
	v_addc_co_u32_e32 v3, vcc, v4, v3, vcc
	s_waitcnt vmcnt(11)
	global_store_dwordx2 v[0:1], v[17:18], off
	global_store_dwordx2 v[2:3], v[19:20], off
	v_or_b32_e32 v0, 0xa00, v33
	v_mov_b32_e32 v1, v34
	v_lshlrev_b64 v[0:1], 3, v[0:1]
	v_mov_b32_e32 v2, s3
	v_add_co_u32_e32 v0, vcc, s2, v0
	v_addc_co_u32_e32 v1, vcc, v2, v1, vcc
	s_waitcnt vmcnt(12)
	global_store_dwordx2 v[0:1], v[21:22], off
	v_or_b32_e32 v0, 0xb00, v33
	v_mov_b32_e32 v1, v34
	v_lshlrev_b64 v[0:1], 3, v[0:1]
	v_add_co_u32_e32 v0, vcc, s2, v0
	v_addc_co_u32_e32 v1, vcc, v2, v1, vcc
	global_store_dwordx2 v[0:1], v[23:24], off
	v_or_b32_e32 v0, 0xc00, v33
	v_mov_b32_e32 v1, v34
	v_lshlrev_b64 v[0:1], 3, v[0:1]
	v_add_co_u32_e32 v0, vcc, s2, v0
	v_addc_co_u32_e32 v1, vcc, v2, v1, vcc
	s_waitcnt vmcnt(12)
	global_store_dwordx2 v[0:1], v[29:30], off
	v_or_b32_e32 v0, 0xd00, v33
	v_mov_b32_e32 v1, v34
	v_lshlrev_b64 v[0:1], 3, v[0:1]
	v_add_co_u32_e32 v0, vcc, s2, v0
	v_addc_co_u32_e32 v1, vcc, v2, v1, vcc
	global_store_dwordx2 v[0:1], v[31:32], off
	v_or_b32_e32 v0, 0xe00, v33
	v_mov_b32_e32 v1, v34
	v_lshlrev_b64 v[0:1], 3, v[0:1]
	v_or_b32_e32 v33, 0xf00, v33
	v_add_co_u32_e32 v0, vcc, s2, v0
	v_addc_co_u32_e32 v1, vcc, v2, v1, vcc
	global_store_dwordx2 v[0:1], v[25:26], off
	v_lshlrev_b64 v[0:1], 3, v[33:34]
	v_add_co_u32_e32 v0, vcc, s2, v0
	v_addc_co_u32_e32 v1, vcc, v2, v1, vcc
	global_store_dwordx2 v[0:1], v[27:28], off
	s_endpgm
	.section	.rodata,"a",@progbits
	.p2align	6, 0x0
	.amdhsa_kernel _Z16warp_load_kernelILj256ELj16ELj32ELN6hipcub17WarpLoadAlgorithmE0EdEvPT3_S3_
		.amdhsa_group_segment_fixed_size 0
		.amdhsa_private_segment_fixed_size 0
		.amdhsa_kernarg_size 16
		.amdhsa_user_sgpr_count 6
		.amdhsa_user_sgpr_private_segment_buffer 1
		.amdhsa_user_sgpr_dispatch_ptr 0
		.amdhsa_user_sgpr_queue_ptr 0
		.amdhsa_user_sgpr_kernarg_segment_ptr 1
		.amdhsa_user_sgpr_dispatch_id 0
		.amdhsa_user_sgpr_flat_scratch_init 0
		.amdhsa_user_sgpr_private_segment_size 0
		.amdhsa_uses_dynamic_stack 0
		.amdhsa_system_sgpr_private_segment_wavefront_offset 0
		.amdhsa_system_sgpr_workgroup_id_x 1
		.amdhsa_system_sgpr_workgroup_id_y 0
		.amdhsa_system_sgpr_workgroup_id_z 0
		.amdhsa_system_sgpr_workgroup_info 0
		.amdhsa_system_vgpr_workitem_id 0
		.amdhsa_next_free_vgpr 39
		.amdhsa_next_free_sgpr 7
		.amdhsa_reserve_vcc 1
		.amdhsa_reserve_flat_scratch 0
		.amdhsa_float_round_mode_32 0
		.amdhsa_float_round_mode_16_64 0
		.amdhsa_float_denorm_mode_32 3
		.amdhsa_float_denorm_mode_16_64 3
		.amdhsa_dx10_clamp 1
		.amdhsa_ieee_mode 1
		.amdhsa_fp16_overflow 0
		.amdhsa_exception_fp_ieee_invalid_op 0
		.amdhsa_exception_fp_denorm_src 0
		.amdhsa_exception_fp_ieee_div_zero 0
		.amdhsa_exception_fp_ieee_overflow 0
		.amdhsa_exception_fp_ieee_underflow 0
		.amdhsa_exception_fp_ieee_inexact 0
		.amdhsa_exception_int_div_zero 0
	.end_amdhsa_kernel
	.section	.text._Z16warp_load_kernelILj256ELj16ELj32ELN6hipcub17WarpLoadAlgorithmE0EdEvPT3_S3_,"axG",@progbits,_Z16warp_load_kernelILj256ELj16ELj32ELN6hipcub17WarpLoadAlgorithmE0EdEvPT3_S3_,comdat
.Lfunc_end27:
	.size	_Z16warp_load_kernelILj256ELj16ELj32ELN6hipcub17WarpLoadAlgorithmE0EdEvPT3_S3_, .Lfunc_end27-_Z16warp_load_kernelILj256ELj16ELj32ELN6hipcub17WarpLoadAlgorithmE0EdEvPT3_S3_
                                        ; -- End function
	.set _Z16warp_load_kernelILj256ELj16ELj32ELN6hipcub17WarpLoadAlgorithmE0EdEvPT3_S3_.num_vgpr, 39
	.set _Z16warp_load_kernelILj256ELj16ELj32ELN6hipcub17WarpLoadAlgorithmE0EdEvPT3_S3_.num_agpr, 0
	.set _Z16warp_load_kernelILj256ELj16ELj32ELN6hipcub17WarpLoadAlgorithmE0EdEvPT3_S3_.numbered_sgpr, 7
	.set _Z16warp_load_kernelILj256ELj16ELj32ELN6hipcub17WarpLoadAlgorithmE0EdEvPT3_S3_.num_named_barrier, 0
	.set _Z16warp_load_kernelILj256ELj16ELj32ELN6hipcub17WarpLoadAlgorithmE0EdEvPT3_S3_.private_seg_size, 0
	.set _Z16warp_load_kernelILj256ELj16ELj32ELN6hipcub17WarpLoadAlgorithmE0EdEvPT3_S3_.uses_vcc, 1
	.set _Z16warp_load_kernelILj256ELj16ELj32ELN6hipcub17WarpLoadAlgorithmE0EdEvPT3_S3_.uses_flat_scratch, 0
	.set _Z16warp_load_kernelILj256ELj16ELj32ELN6hipcub17WarpLoadAlgorithmE0EdEvPT3_S3_.has_dyn_sized_stack, 0
	.set _Z16warp_load_kernelILj256ELj16ELj32ELN6hipcub17WarpLoadAlgorithmE0EdEvPT3_S3_.has_recursion, 0
	.set _Z16warp_load_kernelILj256ELj16ELj32ELN6hipcub17WarpLoadAlgorithmE0EdEvPT3_S3_.has_indirect_call, 0
	.section	.AMDGPU.csdata,"",@progbits
; Kernel info:
; codeLenInByte = 760
; TotalNumSgprs: 11
; NumVgprs: 39
; ScratchSize: 0
; MemoryBound: 1
; FloatMode: 240
; IeeeMode: 1
; LDSByteSize: 0 bytes/workgroup (compile time only)
; SGPRBlocks: 1
; VGPRBlocks: 9
; NumSGPRsForWavesPerEU: 11
; NumVGPRsForWavesPerEU: 39
; Occupancy: 6
; WaveLimiterHint : 1
; COMPUTE_PGM_RSRC2:SCRATCH_EN: 0
; COMPUTE_PGM_RSRC2:USER_SGPR: 6
; COMPUTE_PGM_RSRC2:TRAP_HANDLER: 0
; COMPUTE_PGM_RSRC2:TGID_X_EN: 1
; COMPUTE_PGM_RSRC2:TGID_Y_EN: 0
; COMPUTE_PGM_RSRC2:TGID_Z_EN: 0
; COMPUTE_PGM_RSRC2:TIDIG_COMP_CNT: 0
	.section	.text._Z16warp_load_kernelILj256ELj16ELj32ELN6hipcub17WarpLoadAlgorithmE1EdEvPT3_S3_,"axG",@progbits,_Z16warp_load_kernelILj256ELj16ELj32ELN6hipcub17WarpLoadAlgorithmE1EdEvPT3_S3_,comdat
	.protected	_Z16warp_load_kernelILj256ELj16ELj32ELN6hipcub17WarpLoadAlgorithmE1EdEvPT3_S3_ ; -- Begin function _Z16warp_load_kernelILj256ELj16ELj32ELN6hipcub17WarpLoadAlgorithmE1EdEvPT3_S3_
	.globl	_Z16warp_load_kernelILj256ELj16ELj32ELN6hipcub17WarpLoadAlgorithmE1EdEvPT3_S3_
	.p2align	8
	.type	_Z16warp_load_kernelILj256ELj16ELj32ELN6hipcub17WarpLoadAlgorithmE1EdEvPT3_S3_,@function
_Z16warp_load_kernelILj256ELj16ELj32ELN6hipcub17WarpLoadAlgorithmE1EdEvPT3_S3_: ; @_Z16warp_load_kernelILj256ELj16ELj32ELN6hipcub17WarpLoadAlgorithmE1EdEvPT3_S3_
; %bb.0:
	v_mbcnt_lo_u32_b32 v1, -1, 0
	v_mbcnt_hi_u32_b32 v1, -1, v1
	s_load_dwordx4 s[0:3], s[4:5], 0x0
	v_and_b32_e32 v5, 31, v1
	v_lshlrev_b32_e32 v1, 4, v0
	s_lshl_b32 s4, s6, 12
	v_and_b32_e32 v1, 0xe00, v1
	v_or_b32_e32 v1, s4, v1
	v_mov_b32_e32 v2, 0
	v_lshlrev_b64 v[3:4], 3, v[1:2]
	s_waitcnt lgkmcnt(0)
	v_mov_b32_e32 v1, s1
	v_add_co_u32_e32 v3, vcc, s0, v3
	v_addc_co_u32_e32 v1, vcc, v1, v4, vcc
	v_lshlrev_b32_e32 v4, 3, v5
	v_add_co_u32_e32 v3, vcc, v3, v4
	v_addc_co_u32_e32 v4, vcc, 0, v1, vcc
	global_load_dwordx2 v[5:6], v[3:4], off
	global_load_dwordx2 v[7:8], v[3:4], off offset:256
	global_load_dwordx2 v[9:10], v[3:4], off offset:512
	;; [unrolled: 1-line block ×9, first 2 shown]
	v_or_b32_e32 v1, s4, v0
	v_lshlrev_b64 v[25:26], 3, v[1:2]
	v_mov_b32_e32 v24, v2
	v_or_b32_e32 v23, 0x200, v1
	v_mov_b32_e32 v0, s3
	v_lshlrev_b64 v[23:24], 3, v[23:24]
	v_add_co_u32_e32 v25, vcc, s2, v25
	v_addc_co_u32_e32 v26, vcc, v0, v26, vcc
	v_mov_b32_e32 v29, s3
	v_add_co_u32_e32 v23, vcc, s2, v23
	v_addc_co_u32_e32 v24, vcc, v29, v24, vcc
	global_load_dwordx2 v[29:30], v[3:4], off offset:2560
	global_load_dwordx2 v[31:32], v[3:4], off offset:2816
	;; [unrolled: 1-line block ×6, first 2 shown]
	v_mov_b32_e32 v4, v2
	v_or_b32_e32 v3, 0x300, v1
	v_lshlrev_b64 v[3:4], 3, v[3:4]
	s_waitcnt vmcnt(15)
	global_store_dwordx2 v[25:26], v[5:6], off
	s_waitcnt vmcnt(15)
	global_store_dwordx2 v[25:26], v[7:8], off offset:2048
	v_mov_b32_e32 v6, v2
	v_or_b32_e32 v5, 0x400, v1
	v_add_co_u32_e32 v3, vcc, s2, v3
	v_lshlrev_b64 v[5:6], 3, v[5:6]
	v_addc_co_u32_e32 v4, vcc, v0, v4, vcc
	v_mov_b32_e32 v8, v2
	v_or_b32_e32 v7, 0x500, v1
	s_waitcnt vmcnt(14)
	global_store_dwordx2 v[3:4], v[11:12], off
	v_lshlrev_b64 v[3:4], 3, v[7:8]
	v_add_co_u32_e32 v5, vcc, s2, v5
	global_store_dwordx2 v[23:24], v[9:10], off
	v_mov_b32_e32 v10, v2
	v_or_b32_e32 v9, 0x600, v1
	v_addc_co_u32_e32 v6, vcc, v0, v6, vcc
	v_mov_b32_e32 v11, s3
	v_lshlrev_b64 v[7:8], 3, v[9:10]
	v_add_co_u32_e32 v3, vcc, s2, v3
	v_addc_co_u32_e32 v4, vcc, v11, v4, vcc
	s_waitcnt vmcnt(15)
	global_store_dwordx2 v[5:6], v[13:14], off
	s_waitcnt vmcnt(15)
	global_store_dwordx2 v[3:4], v[15:16], off
	v_add_co_u32_e32 v3, vcc, s2, v7
	v_addc_co_u32_e32 v4, vcc, v0, v8, vcc
	s_waitcnt vmcnt(15)
	global_store_dwordx2 v[3:4], v[17:18], off
	v_or_b32_e32 v3, 0x700, v1
	v_mov_b32_e32 v4, v2
	v_lshlrev_b64 v[3:4], 3, v[3:4]
	v_add_co_u32_e32 v3, vcc, s2, v3
	v_addc_co_u32_e32 v4, vcc, v0, v4, vcc
	s_waitcnt vmcnt(15)
	global_store_dwordx2 v[3:4], v[19:20], off
	v_or_b32_e32 v3, 0x800, v1
	v_mov_b32_e32 v4, v2
	v_lshlrev_b64 v[3:4], 3, v[3:4]
	v_add_co_u32_e32 v3, vcc, s2, v3
	v_addc_co_u32_e32 v4, vcc, v0, v4, vcc
	s_waitcnt vmcnt(15)
	global_store_dwordx2 v[3:4], v[21:22], off
	v_or_b32_e32 v3, 0x900, v1
	v_mov_b32_e32 v4, v2
	v_lshlrev_b64 v[3:4], 3, v[3:4]
	v_add_co_u32_e32 v3, vcc, s2, v3
	v_addc_co_u32_e32 v4, vcc, v0, v4, vcc
	s_waitcnt vmcnt(15)
	global_store_dwordx2 v[3:4], v[27:28], off
	v_or_b32_e32 v3, 0xa00, v1
	v_mov_b32_e32 v4, v2
	v_lshlrev_b64 v[3:4], 3, v[3:4]
	v_add_co_u32_e32 v3, vcc, s2, v3
	v_addc_co_u32_e32 v4, vcc, v0, v4, vcc
	s_waitcnt vmcnt(15)
	global_store_dwordx2 v[3:4], v[29:30], off
	v_or_b32_e32 v3, 0xb00, v1
	v_mov_b32_e32 v4, v2
	v_lshlrev_b64 v[3:4], 3, v[3:4]
	v_add_co_u32_e32 v3, vcc, s2, v3
	v_addc_co_u32_e32 v4, vcc, v0, v4, vcc
	s_waitcnt vmcnt(15)
	global_store_dwordx2 v[3:4], v[31:32], off
	v_or_b32_e32 v3, 0xc00, v1
	v_mov_b32_e32 v4, v2
	v_lshlrev_b64 v[3:4], 3, v[3:4]
	v_add_co_u32_e32 v3, vcc, s2, v3
	v_addc_co_u32_e32 v4, vcc, v0, v4, vcc
	s_waitcnt vmcnt(15)
	global_store_dwordx2 v[3:4], v[33:34], off
	v_or_b32_e32 v3, 0xd00, v1
	v_mov_b32_e32 v4, v2
	v_lshlrev_b64 v[3:4], 3, v[3:4]
	v_add_co_u32_e32 v3, vcc, s2, v3
	v_addc_co_u32_e32 v4, vcc, v0, v4, vcc
	s_waitcnt vmcnt(15)
	global_store_dwordx2 v[3:4], v[35:36], off
	v_or_b32_e32 v3, 0xe00, v1
	v_mov_b32_e32 v4, v2
	v_lshlrev_b64 v[3:4], 3, v[3:4]
	v_or_b32_e32 v1, 0xf00, v1
	v_add_co_u32_e32 v3, vcc, s2, v3
	v_addc_co_u32_e32 v4, vcc, v0, v4, vcc
	v_lshlrev_b64 v[0:1], 3, v[1:2]
	v_mov_b32_e32 v2, s3
	v_add_co_u32_e32 v0, vcc, s2, v0
	v_addc_co_u32_e32 v1, vcc, v2, v1, vcc
	s_waitcnt vmcnt(15)
	global_store_dwordx2 v[3:4], v[37:38], off
	s_waitcnt vmcnt(15)
	global_store_dwordx2 v[0:1], v[39:40], off
	s_endpgm
	.section	.rodata,"a",@progbits
	.p2align	6, 0x0
	.amdhsa_kernel _Z16warp_load_kernelILj256ELj16ELj32ELN6hipcub17WarpLoadAlgorithmE1EdEvPT3_S3_
		.amdhsa_group_segment_fixed_size 0
		.amdhsa_private_segment_fixed_size 0
		.amdhsa_kernarg_size 16
		.amdhsa_user_sgpr_count 6
		.amdhsa_user_sgpr_private_segment_buffer 1
		.amdhsa_user_sgpr_dispatch_ptr 0
		.amdhsa_user_sgpr_queue_ptr 0
		.amdhsa_user_sgpr_kernarg_segment_ptr 1
		.amdhsa_user_sgpr_dispatch_id 0
		.amdhsa_user_sgpr_flat_scratch_init 0
		.amdhsa_user_sgpr_private_segment_size 0
		.amdhsa_uses_dynamic_stack 0
		.amdhsa_system_sgpr_private_segment_wavefront_offset 0
		.amdhsa_system_sgpr_workgroup_id_x 1
		.amdhsa_system_sgpr_workgroup_id_y 0
		.amdhsa_system_sgpr_workgroup_id_z 0
		.amdhsa_system_sgpr_workgroup_info 0
		.amdhsa_system_vgpr_workitem_id 0
		.amdhsa_next_free_vgpr 41
		.amdhsa_next_free_sgpr 7
		.amdhsa_reserve_vcc 1
		.amdhsa_reserve_flat_scratch 0
		.amdhsa_float_round_mode_32 0
		.amdhsa_float_round_mode_16_64 0
		.amdhsa_float_denorm_mode_32 3
		.amdhsa_float_denorm_mode_16_64 3
		.amdhsa_dx10_clamp 1
		.amdhsa_ieee_mode 1
		.amdhsa_fp16_overflow 0
		.amdhsa_exception_fp_ieee_invalid_op 0
		.amdhsa_exception_fp_denorm_src 0
		.amdhsa_exception_fp_ieee_div_zero 0
		.amdhsa_exception_fp_ieee_overflow 0
		.amdhsa_exception_fp_ieee_underflow 0
		.amdhsa_exception_fp_ieee_inexact 0
		.amdhsa_exception_int_div_zero 0
	.end_amdhsa_kernel
	.section	.text._Z16warp_load_kernelILj256ELj16ELj32ELN6hipcub17WarpLoadAlgorithmE1EdEvPT3_S3_,"axG",@progbits,_Z16warp_load_kernelILj256ELj16ELj32ELN6hipcub17WarpLoadAlgorithmE1EdEvPT3_S3_,comdat
.Lfunc_end28:
	.size	_Z16warp_load_kernelILj256ELj16ELj32ELN6hipcub17WarpLoadAlgorithmE1EdEvPT3_S3_, .Lfunc_end28-_Z16warp_load_kernelILj256ELj16ELj32ELN6hipcub17WarpLoadAlgorithmE1EdEvPT3_S3_
                                        ; -- End function
	.set _Z16warp_load_kernelILj256ELj16ELj32ELN6hipcub17WarpLoadAlgorithmE1EdEvPT3_S3_.num_vgpr, 41
	.set _Z16warp_load_kernelILj256ELj16ELj32ELN6hipcub17WarpLoadAlgorithmE1EdEvPT3_S3_.num_agpr, 0
	.set _Z16warp_load_kernelILj256ELj16ELj32ELN6hipcub17WarpLoadAlgorithmE1EdEvPT3_S3_.numbered_sgpr, 7
	.set _Z16warp_load_kernelILj256ELj16ELj32ELN6hipcub17WarpLoadAlgorithmE1EdEvPT3_S3_.num_named_barrier, 0
	.set _Z16warp_load_kernelILj256ELj16ELj32ELN6hipcub17WarpLoadAlgorithmE1EdEvPT3_S3_.private_seg_size, 0
	.set _Z16warp_load_kernelILj256ELj16ELj32ELN6hipcub17WarpLoadAlgorithmE1EdEvPT3_S3_.uses_vcc, 1
	.set _Z16warp_load_kernelILj256ELj16ELj32ELN6hipcub17WarpLoadAlgorithmE1EdEvPT3_S3_.uses_flat_scratch, 0
	.set _Z16warp_load_kernelILj256ELj16ELj32ELN6hipcub17WarpLoadAlgorithmE1EdEvPT3_S3_.has_dyn_sized_stack, 0
	.set _Z16warp_load_kernelILj256ELj16ELj32ELN6hipcub17WarpLoadAlgorithmE1EdEvPT3_S3_.has_recursion, 0
	.set _Z16warp_load_kernelILj256ELj16ELj32ELN6hipcub17WarpLoadAlgorithmE1EdEvPT3_S3_.has_indirect_call, 0
	.section	.AMDGPU.csdata,"",@progbits
; Kernel info:
; codeLenInByte = 832
; TotalNumSgprs: 11
; NumVgprs: 41
; ScratchSize: 0
; MemoryBound: 1
; FloatMode: 240
; IeeeMode: 1
; LDSByteSize: 0 bytes/workgroup (compile time only)
; SGPRBlocks: 1
; VGPRBlocks: 10
; NumSGPRsForWavesPerEU: 11
; NumVGPRsForWavesPerEU: 41
; Occupancy: 5
; WaveLimiterHint : 1
; COMPUTE_PGM_RSRC2:SCRATCH_EN: 0
; COMPUTE_PGM_RSRC2:USER_SGPR: 6
; COMPUTE_PGM_RSRC2:TRAP_HANDLER: 0
; COMPUTE_PGM_RSRC2:TGID_X_EN: 1
; COMPUTE_PGM_RSRC2:TGID_Y_EN: 0
; COMPUTE_PGM_RSRC2:TGID_Z_EN: 0
; COMPUTE_PGM_RSRC2:TIDIG_COMP_CNT: 0
	.section	.text._Z16warp_load_kernelILj256ELj16ELj32ELN6hipcub17WarpLoadAlgorithmE2EdEvPT3_S3_,"axG",@progbits,_Z16warp_load_kernelILj256ELj16ELj32ELN6hipcub17WarpLoadAlgorithmE2EdEvPT3_S3_,comdat
	.protected	_Z16warp_load_kernelILj256ELj16ELj32ELN6hipcub17WarpLoadAlgorithmE2EdEvPT3_S3_ ; -- Begin function _Z16warp_load_kernelILj256ELj16ELj32ELN6hipcub17WarpLoadAlgorithmE2EdEvPT3_S3_
	.globl	_Z16warp_load_kernelILj256ELj16ELj32ELN6hipcub17WarpLoadAlgorithmE2EdEvPT3_S3_
	.p2align	8
	.type	_Z16warp_load_kernelILj256ELj16ELj32ELN6hipcub17WarpLoadAlgorithmE2EdEvPT3_S3_,@function
_Z16warp_load_kernelILj256ELj16ELj32ELN6hipcub17WarpLoadAlgorithmE2EdEvPT3_S3_: ; @_Z16warp_load_kernelILj256ELj16ELj32ELN6hipcub17WarpLoadAlgorithmE2EdEvPT3_S3_
; %bb.0:
	v_mbcnt_lo_u32_b32 v1, -1, 0
	s_load_dwordx4 s[0:3], s[4:5], 0x0
	v_mbcnt_hi_u32_b32 v3, -1, v1
	v_lshlrev_b32_e32 v1, 4, v0
	s_lshl_b32 s4, s6, 12
	v_and_b32_e32 v1, 0xe00, v1
	v_or_b32_e32 v33, s4, v1
	v_mov_b32_e32 v34, 0
	v_lshlrev_b64 v[1:2], 3, v[33:34]
	s_waitcnt lgkmcnt(0)
	v_mov_b32_e32 v4, s1
	v_add_co_u32_e32 v1, vcc, s0, v1
	v_lshlrev_b32_e32 v3, 7, v3
	v_addc_co_u32_e32 v2, vcc, v4, v2, vcc
	v_and_b32_e32 v3, 0xf80, v3
	v_add_co_u32_e32 v35, vcc, v1, v3
	v_addc_co_u32_e32 v36, vcc, 0, v2, vcc
	global_load_dwordx4 v[1:4], v[35:36], off
	global_load_dwordx4 v[5:8], v[35:36], off offset:16
	global_load_dwordx4 v[9:12], v[35:36], off offset:32
	;; [unrolled: 1-line block ×4, first 2 shown]
	v_or_b32_e32 v33, s4, v0
	v_lshlrev_b64 v[21:22], 3, v[33:34]
	v_mov_b32_e32 v0, s3
	v_add_co_u32_e32 v37, vcc, s2, v21
	v_addc_co_u32_e32 v38, vcc, v0, v22, vcc
	global_load_dwordx4 v[21:24], v[35:36], off offset:80
	global_load_dwordx4 v[25:28], v[35:36], off offset:112
	;; [unrolled: 1-line block ×3, first 2 shown]
	v_or_b32_e32 v0, 0x200, v33
	s_waitcnt vmcnt(7)
	global_store_dwordx2 v[37:38], v[1:2], off
	global_store_dwordx2 v[37:38], v[3:4], off offset:2048
	v_mov_b32_e32 v1, v34
	v_lshlrev_b64 v[0:1], 3, v[0:1]
	v_mov_b32_e32 v2, s3
	v_add_co_u32_e32 v0, vcc, s2, v0
	v_addc_co_u32_e32 v1, vcc, v2, v1, vcc
	v_mov_b32_e32 v3, v34
	v_or_b32_e32 v2, 0x300, v33
	v_lshlrev_b64 v[2:3], 3, v[2:3]
	v_mov_b32_e32 v4, s3
	v_add_co_u32_e32 v2, vcc, s2, v2
	v_addc_co_u32_e32 v3, vcc, v4, v3, vcc
	v_mov_b32_e32 v4, v34
	s_waitcnt vmcnt(8)
	global_store_dwordx2 v[2:3], v[7:8], off
	v_or_b32_e32 v3, 0x400, v33
	v_lshlrev_b64 v[2:3], 3, v[3:4]
	global_store_dwordx2 v[0:1], v[5:6], off
	v_mov_b32_e32 v1, v34
	v_or_b32_e32 v0, 0x500, v33
	v_mov_b32_e32 v7, s3
	v_lshlrev_b64 v[0:1], 3, v[0:1]
	v_add_co_u32_e32 v2, vcc, s2, v2
	v_mov_b32_e32 v6, v34
	v_or_b32_e32 v5, 0x600, v33
	v_addc_co_u32_e32 v3, vcc, v7, v3, vcc
	v_mov_b32_e32 v8, s3
	v_lshlrev_b64 v[4:5], 3, v[5:6]
	v_add_co_u32_e32 v0, vcc, s2, v0
	v_addc_co_u32_e32 v1, vcc, v8, v1, vcc
	v_mov_b32_e32 v6, s3
	v_add_co_u32_e32 v4, vcc, s2, v4
	v_addc_co_u32_e32 v5, vcc, v6, v5, vcc
	v_mov_b32_e32 v7, v34
	v_or_b32_e32 v6, 0x700, v33
	v_lshlrev_b64 v[6:7], 3, v[6:7]
	s_waitcnt vmcnt(9)
	global_store_dwordx2 v[2:3], v[9:10], off
	global_store_dwordx2 v[0:1], v[11:12], off
	v_add_co_u32_e32 v0, vcc, s2, v6
	v_addc_co_u32_e32 v1, vcc, v8, v7, vcc
	s_waitcnt vmcnt(10)
	global_store_dwordx2 v[4:5], v[13:14], off
	global_store_dwordx2 v[0:1], v[15:16], off
	v_or_b32_e32 v0, 0x800, v33
	v_mov_b32_e32 v1, v34
	v_lshlrev_b64 v[0:1], 3, v[0:1]
	v_mov_b32_e32 v2, s3
	v_add_co_u32_e32 v0, vcc, s2, v0
	v_addc_co_u32_e32 v1, vcc, v2, v1, vcc
	v_or_b32_e32 v2, 0x900, v33
	v_mov_b32_e32 v3, v34
	v_lshlrev_b64 v[2:3], 3, v[2:3]
	v_mov_b32_e32 v4, s3
	v_add_co_u32_e32 v2, vcc, s2, v2
	v_addc_co_u32_e32 v3, vcc, v4, v3, vcc
	s_waitcnt vmcnt(11)
	global_store_dwordx2 v[0:1], v[17:18], off
	global_store_dwordx2 v[2:3], v[19:20], off
	v_or_b32_e32 v0, 0xa00, v33
	v_mov_b32_e32 v1, v34
	v_lshlrev_b64 v[0:1], 3, v[0:1]
	v_mov_b32_e32 v2, s3
	v_add_co_u32_e32 v0, vcc, s2, v0
	v_addc_co_u32_e32 v1, vcc, v2, v1, vcc
	s_waitcnt vmcnt(12)
	global_store_dwordx2 v[0:1], v[21:22], off
	v_or_b32_e32 v0, 0xb00, v33
	v_mov_b32_e32 v1, v34
	v_lshlrev_b64 v[0:1], 3, v[0:1]
	v_add_co_u32_e32 v0, vcc, s2, v0
	v_addc_co_u32_e32 v1, vcc, v2, v1, vcc
	global_store_dwordx2 v[0:1], v[23:24], off
	v_or_b32_e32 v0, 0xc00, v33
	v_mov_b32_e32 v1, v34
	v_lshlrev_b64 v[0:1], 3, v[0:1]
	v_add_co_u32_e32 v0, vcc, s2, v0
	v_addc_co_u32_e32 v1, vcc, v2, v1, vcc
	s_waitcnt vmcnt(12)
	global_store_dwordx2 v[0:1], v[29:30], off
	v_or_b32_e32 v0, 0xd00, v33
	v_mov_b32_e32 v1, v34
	v_lshlrev_b64 v[0:1], 3, v[0:1]
	v_add_co_u32_e32 v0, vcc, s2, v0
	v_addc_co_u32_e32 v1, vcc, v2, v1, vcc
	global_store_dwordx2 v[0:1], v[31:32], off
	v_or_b32_e32 v0, 0xe00, v33
	v_mov_b32_e32 v1, v34
	v_lshlrev_b64 v[0:1], 3, v[0:1]
	v_or_b32_e32 v33, 0xf00, v33
	v_add_co_u32_e32 v0, vcc, s2, v0
	v_addc_co_u32_e32 v1, vcc, v2, v1, vcc
	global_store_dwordx2 v[0:1], v[25:26], off
	v_lshlrev_b64 v[0:1], 3, v[33:34]
	v_add_co_u32_e32 v0, vcc, s2, v0
	v_addc_co_u32_e32 v1, vcc, v2, v1, vcc
	global_store_dwordx2 v[0:1], v[27:28], off
	s_endpgm
	.section	.rodata,"a",@progbits
	.p2align	6, 0x0
	.amdhsa_kernel _Z16warp_load_kernelILj256ELj16ELj32ELN6hipcub17WarpLoadAlgorithmE2EdEvPT3_S3_
		.amdhsa_group_segment_fixed_size 0
		.amdhsa_private_segment_fixed_size 0
		.amdhsa_kernarg_size 16
		.amdhsa_user_sgpr_count 6
		.amdhsa_user_sgpr_private_segment_buffer 1
		.amdhsa_user_sgpr_dispatch_ptr 0
		.amdhsa_user_sgpr_queue_ptr 0
		.amdhsa_user_sgpr_kernarg_segment_ptr 1
		.amdhsa_user_sgpr_dispatch_id 0
		.amdhsa_user_sgpr_flat_scratch_init 0
		.amdhsa_user_sgpr_private_segment_size 0
		.amdhsa_uses_dynamic_stack 0
		.amdhsa_system_sgpr_private_segment_wavefront_offset 0
		.amdhsa_system_sgpr_workgroup_id_x 1
		.amdhsa_system_sgpr_workgroup_id_y 0
		.amdhsa_system_sgpr_workgroup_id_z 0
		.amdhsa_system_sgpr_workgroup_info 0
		.amdhsa_system_vgpr_workitem_id 0
		.amdhsa_next_free_vgpr 39
		.amdhsa_next_free_sgpr 7
		.amdhsa_reserve_vcc 1
		.amdhsa_reserve_flat_scratch 0
		.amdhsa_float_round_mode_32 0
		.amdhsa_float_round_mode_16_64 0
		.amdhsa_float_denorm_mode_32 3
		.amdhsa_float_denorm_mode_16_64 3
		.amdhsa_dx10_clamp 1
		.amdhsa_ieee_mode 1
		.amdhsa_fp16_overflow 0
		.amdhsa_exception_fp_ieee_invalid_op 0
		.amdhsa_exception_fp_denorm_src 0
		.amdhsa_exception_fp_ieee_div_zero 0
		.amdhsa_exception_fp_ieee_overflow 0
		.amdhsa_exception_fp_ieee_underflow 0
		.amdhsa_exception_fp_ieee_inexact 0
		.amdhsa_exception_int_div_zero 0
	.end_amdhsa_kernel
	.section	.text._Z16warp_load_kernelILj256ELj16ELj32ELN6hipcub17WarpLoadAlgorithmE2EdEvPT3_S3_,"axG",@progbits,_Z16warp_load_kernelILj256ELj16ELj32ELN6hipcub17WarpLoadAlgorithmE2EdEvPT3_S3_,comdat
.Lfunc_end29:
	.size	_Z16warp_load_kernelILj256ELj16ELj32ELN6hipcub17WarpLoadAlgorithmE2EdEvPT3_S3_, .Lfunc_end29-_Z16warp_load_kernelILj256ELj16ELj32ELN6hipcub17WarpLoadAlgorithmE2EdEvPT3_S3_
                                        ; -- End function
	.set _Z16warp_load_kernelILj256ELj16ELj32ELN6hipcub17WarpLoadAlgorithmE2EdEvPT3_S3_.num_vgpr, 39
	.set _Z16warp_load_kernelILj256ELj16ELj32ELN6hipcub17WarpLoadAlgorithmE2EdEvPT3_S3_.num_agpr, 0
	.set _Z16warp_load_kernelILj256ELj16ELj32ELN6hipcub17WarpLoadAlgorithmE2EdEvPT3_S3_.numbered_sgpr, 7
	.set _Z16warp_load_kernelILj256ELj16ELj32ELN6hipcub17WarpLoadAlgorithmE2EdEvPT3_S3_.num_named_barrier, 0
	.set _Z16warp_load_kernelILj256ELj16ELj32ELN6hipcub17WarpLoadAlgorithmE2EdEvPT3_S3_.private_seg_size, 0
	.set _Z16warp_load_kernelILj256ELj16ELj32ELN6hipcub17WarpLoadAlgorithmE2EdEvPT3_S3_.uses_vcc, 1
	.set _Z16warp_load_kernelILj256ELj16ELj32ELN6hipcub17WarpLoadAlgorithmE2EdEvPT3_S3_.uses_flat_scratch, 0
	.set _Z16warp_load_kernelILj256ELj16ELj32ELN6hipcub17WarpLoadAlgorithmE2EdEvPT3_S3_.has_dyn_sized_stack, 0
	.set _Z16warp_load_kernelILj256ELj16ELj32ELN6hipcub17WarpLoadAlgorithmE2EdEvPT3_S3_.has_recursion, 0
	.set _Z16warp_load_kernelILj256ELj16ELj32ELN6hipcub17WarpLoadAlgorithmE2EdEvPT3_S3_.has_indirect_call, 0
	.section	.AMDGPU.csdata,"",@progbits
; Kernel info:
; codeLenInByte = 760
; TotalNumSgprs: 11
; NumVgprs: 39
; ScratchSize: 0
; MemoryBound: 1
; FloatMode: 240
; IeeeMode: 1
; LDSByteSize: 0 bytes/workgroup (compile time only)
; SGPRBlocks: 1
; VGPRBlocks: 9
; NumSGPRsForWavesPerEU: 11
; NumVGPRsForWavesPerEU: 39
; Occupancy: 6
; WaveLimiterHint : 1
; COMPUTE_PGM_RSRC2:SCRATCH_EN: 0
; COMPUTE_PGM_RSRC2:USER_SGPR: 6
; COMPUTE_PGM_RSRC2:TRAP_HANDLER: 0
; COMPUTE_PGM_RSRC2:TGID_X_EN: 1
; COMPUTE_PGM_RSRC2:TGID_Y_EN: 0
; COMPUTE_PGM_RSRC2:TGID_Z_EN: 0
; COMPUTE_PGM_RSRC2:TIDIG_COMP_CNT: 0
	.section	.text._Z16warp_load_kernelILj256ELj16ELj32ELN6hipcub17WarpLoadAlgorithmE3EdEvPT3_S3_,"axG",@progbits,_Z16warp_load_kernelILj256ELj16ELj32ELN6hipcub17WarpLoadAlgorithmE3EdEvPT3_S3_,comdat
	.protected	_Z16warp_load_kernelILj256ELj16ELj32ELN6hipcub17WarpLoadAlgorithmE3EdEvPT3_S3_ ; -- Begin function _Z16warp_load_kernelILj256ELj16ELj32ELN6hipcub17WarpLoadAlgorithmE3EdEvPT3_S3_
	.globl	_Z16warp_load_kernelILj256ELj16ELj32ELN6hipcub17WarpLoadAlgorithmE3EdEvPT3_S3_
	.p2align	8
	.type	_Z16warp_load_kernelILj256ELj16ELj32ELN6hipcub17WarpLoadAlgorithmE3EdEvPT3_S3_,@function
_Z16warp_load_kernelILj256ELj16ELj32ELN6hipcub17WarpLoadAlgorithmE3EdEvPT3_S3_: ; @_Z16warp_load_kernelILj256ELj16ELj32ELN6hipcub17WarpLoadAlgorithmE3EdEvPT3_S3_
; %bb.0:
	s_load_dwordx4 s[0:3], s[4:5], 0x0
	v_lshrrev_b32_e32 v31, 5, v0
	v_mbcnt_lo_u32_b32 v1, -1, 0
	s_lshl_b32 s4, s6, 12
	v_mbcnt_hi_u32_b32 v1, -1, v1
	v_lshl_or_b32 v32, v31, 9, s4
	v_mov_b32_e32 v33, 0
	v_and_b32_e32 v36, 31, v1
	v_lshlrev_b64 v[1:2], 3, v[32:33]
	s_waitcnt lgkmcnt(0)
	v_mov_b32_e32 v3, s1
	v_add_co_u32_e32 v1, vcc, s0, v1
	v_addc_co_u32_e32 v2, vcc, v3, v2, vcc
	v_lshlrev_b32_e32 v38, 3, v36
	v_add_co_u32_e32 v1, vcc, v1, v38
	v_addc_co_u32_e32 v2, vcc, 0, v2, vcc
	global_load_dwordx2 v[3:4], v[1:2], off
	global_load_dwordx2 v[5:6], v[1:2], off offset:256
	global_load_dwordx2 v[7:8], v[1:2], off offset:512
	;; [unrolled: 1-line block ×14, first 2 shown]
	s_nop 0
	global_load_dwordx2 v[1:2], v[1:2], off offset:3840
	v_or_b32_e32 v32, s4, v0
	v_lshlrev_b32_e32 v31, 12, v31
	v_lshlrev_b64 v[42:43], 3, v[32:33]
	v_mov_b32_e32 v37, v33
	v_lshl_or_b32 v44, v36, 7, v31
	v_or_b32_e32 v36, 0x200, v32
	v_lshlrev_b64 v[36:37], 3, v[36:37]
	v_mov_b32_e32 v45, s3
	v_add_co_u32_e32 v42, vcc, s2, v42
	v_mov_b32_e32 v39, v33
	v_or_b32_e32 v0, v31, v38
	v_or_b32_e32 v38, 0x300, v32
	v_addc_co_u32_e32 v43, vcc, v45, v43, vcc
	v_lshlrev_b64 v[38:39], 3, v[38:39]
	v_mov_b32_e32 v46, s3
	v_add_co_u32_e32 v36, vcc, s2, v36
	v_mov_b32_e32 v41, v33
	v_or_b32_e32 v40, 0x400, v32
	v_addc_co_u32_e32 v37, vcc, v46, v37, vcc
	v_lshlrev_b64 v[40:41], 3, v[40:41]
	v_mov_b32_e32 v47, s3
	v_add_co_u32_e32 v38, vcc, s2, v38
	v_add_u32_e32 v31, 0x800, v0
	v_addc_co_u32_e32 v39, vcc, v47, v39, vcc
	v_mov_b32_e32 v48, s3
	v_add_co_u32_e32 v40, vcc, s2, v40
	v_addc_co_u32_e32 v41, vcc, v48, v41, vcc
	s_waitcnt vmcnt(14)
	ds_write2_b64 v0, v[3:4], v[5:6] offset1:32
	s_waitcnt vmcnt(12)
	ds_write2_b64 v0, v[7:8], v[9:10] offset0:64 offset1:96
	s_waitcnt vmcnt(10)
	ds_write2_b64 v0, v[11:12], v[13:14] offset0:128 offset1:160
	s_waitcnt vmcnt(8)
	ds_write2_b64 v0, v[15:16], v[17:18] offset0:192 offset1:224
	s_waitcnt vmcnt(6)
	ds_write2_b64 v31, v[19:20], v[21:22] offset1:32
	s_waitcnt vmcnt(4)
	ds_write2_b64 v31, v[23:24], v[25:26] offset0:64 offset1:96
	s_waitcnt vmcnt(2)
	ds_write2_b64 v31, v[27:28], v[29:30] offset0:128 offset1:160
	;; [unrolled: 2-line block ×3, first 2 shown]
	; wave barrier
	ds_read_b128 v[0:3], v44
	ds_read_b128 v[4:7], v44 offset:16
	ds_read_b128 v[8:11], v44 offset:32
	;; [unrolled: 1-line block ×7, first 2 shown]
	s_waitcnt lgkmcnt(7)
	global_store_dwordx2 v[42:43], v[0:1], off
	global_store_dwordx2 v[42:43], v[2:3], off offset:2048
	s_waitcnt lgkmcnt(6)
	global_store_dwordx2 v[36:37], v[4:5], off
	global_store_dwordx2 v[38:39], v[6:7], off
	s_waitcnt lgkmcnt(5)
	global_store_dwordx2 v[40:41], v[8:9], off
	v_or_b32_e32 v0, 0x500, v32
	v_mov_b32_e32 v1, v33
	v_lshlrev_b64 v[0:1], 3, v[0:1]
	v_mov_b32_e32 v2, s3
	v_add_co_u32_e32 v0, vcc, s2, v0
	v_addc_co_u32_e32 v1, vcc, v2, v1, vcc
	global_store_dwordx2 v[0:1], v[10:11], off
	v_or_b32_e32 v0, 0x600, v32
	v_mov_b32_e32 v1, v33
	v_lshlrev_b64 v[0:1], 3, v[0:1]
	v_add_co_u32_e32 v0, vcc, s2, v0
	v_addc_co_u32_e32 v1, vcc, v2, v1, vcc
	s_waitcnt lgkmcnt(4)
	global_store_dwordx2 v[0:1], v[12:13], off
	v_or_b32_e32 v0, 0x700, v32
	v_mov_b32_e32 v1, v33
	v_lshlrev_b64 v[0:1], 3, v[0:1]
	v_add_co_u32_e32 v0, vcc, s2, v0
	v_addc_co_u32_e32 v1, vcc, v2, v1, vcc
	global_store_dwordx2 v[0:1], v[14:15], off
	v_or_b32_e32 v0, 0x800, v32
	v_mov_b32_e32 v1, v33
	v_lshlrev_b64 v[0:1], 3, v[0:1]
	v_add_co_u32_e32 v0, vcc, s2, v0
	v_addc_co_u32_e32 v1, vcc, v2, v1, vcc
	s_waitcnt lgkmcnt(3)
	global_store_dwordx2 v[0:1], v[16:17], off
	v_or_b32_e32 v0, 0x900, v32
	v_mov_b32_e32 v1, v33
	v_lshlrev_b64 v[0:1], 3, v[0:1]
	;; [unrolled: 13-line block ×4, first 2 shown]
	v_add_co_u32_e32 v0, vcc, s2, v0
	v_addc_co_u32_e32 v1, vcc, v2, v1, vcc
	global_store_dwordx2 v[0:1], v[26:27], off
	v_or_b32_e32 v0, 0xe00, v32
	v_mov_b32_e32 v1, v33
	v_lshlrev_b64 v[0:1], 3, v[0:1]
	v_or_b32_e32 v32, 0xf00, v32
	v_add_co_u32_e32 v0, vcc, s2, v0
	v_addc_co_u32_e32 v1, vcc, v2, v1, vcc
	s_waitcnt lgkmcnt(0)
	global_store_dwordx2 v[0:1], v[28:29], off
	v_lshlrev_b64 v[0:1], 3, v[32:33]
	v_add_co_u32_e32 v0, vcc, s2, v0
	v_addc_co_u32_e32 v1, vcc, v2, v1, vcc
	global_store_dwordx2 v[0:1], v[30:31], off
	s_endpgm
	.section	.rodata,"a",@progbits
	.p2align	6, 0x0
	.amdhsa_kernel _Z16warp_load_kernelILj256ELj16ELj32ELN6hipcub17WarpLoadAlgorithmE3EdEvPT3_S3_
		.amdhsa_group_segment_fixed_size 32768
		.amdhsa_private_segment_fixed_size 0
		.amdhsa_kernarg_size 16
		.amdhsa_user_sgpr_count 6
		.amdhsa_user_sgpr_private_segment_buffer 1
		.amdhsa_user_sgpr_dispatch_ptr 0
		.amdhsa_user_sgpr_queue_ptr 0
		.amdhsa_user_sgpr_kernarg_segment_ptr 1
		.amdhsa_user_sgpr_dispatch_id 0
		.amdhsa_user_sgpr_flat_scratch_init 0
		.amdhsa_user_sgpr_private_segment_size 0
		.amdhsa_uses_dynamic_stack 0
		.amdhsa_system_sgpr_private_segment_wavefront_offset 0
		.amdhsa_system_sgpr_workgroup_id_x 1
		.amdhsa_system_sgpr_workgroup_id_y 0
		.amdhsa_system_sgpr_workgroup_id_z 0
		.amdhsa_system_sgpr_workgroup_info 0
		.amdhsa_system_vgpr_workitem_id 0
		.amdhsa_next_free_vgpr 85
		.amdhsa_next_free_sgpr 98
		.amdhsa_reserve_vcc 1
		.amdhsa_reserve_flat_scratch 0
		.amdhsa_float_round_mode_32 0
		.amdhsa_float_round_mode_16_64 0
		.amdhsa_float_denorm_mode_32 3
		.amdhsa_float_denorm_mode_16_64 3
		.amdhsa_dx10_clamp 1
		.amdhsa_ieee_mode 1
		.amdhsa_fp16_overflow 0
		.amdhsa_exception_fp_ieee_invalid_op 0
		.amdhsa_exception_fp_denorm_src 0
		.amdhsa_exception_fp_ieee_div_zero 0
		.amdhsa_exception_fp_ieee_overflow 0
		.amdhsa_exception_fp_ieee_underflow 0
		.amdhsa_exception_fp_ieee_inexact 0
		.amdhsa_exception_int_div_zero 0
	.end_amdhsa_kernel
	.section	.text._Z16warp_load_kernelILj256ELj16ELj32ELN6hipcub17WarpLoadAlgorithmE3EdEvPT3_S3_,"axG",@progbits,_Z16warp_load_kernelILj256ELj16ELj32ELN6hipcub17WarpLoadAlgorithmE3EdEvPT3_S3_,comdat
.Lfunc_end30:
	.size	_Z16warp_load_kernelILj256ELj16ELj32ELN6hipcub17WarpLoadAlgorithmE3EdEvPT3_S3_, .Lfunc_end30-_Z16warp_load_kernelILj256ELj16ELj32ELN6hipcub17WarpLoadAlgorithmE3EdEvPT3_S3_
                                        ; -- End function
	.set _Z16warp_load_kernelILj256ELj16ELj32ELN6hipcub17WarpLoadAlgorithmE3EdEvPT3_S3_.num_vgpr, 49
	.set _Z16warp_load_kernelILj256ELj16ELj32ELN6hipcub17WarpLoadAlgorithmE3EdEvPT3_S3_.num_agpr, 0
	.set _Z16warp_load_kernelILj256ELj16ELj32ELN6hipcub17WarpLoadAlgorithmE3EdEvPT3_S3_.numbered_sgpr, 7
	.set _Z16warp_load_kernelILj256ELj16ELj32ELN6hipcub17WarpLoadAlgorithmE3EdEvPT3_S3_.num_named_barrier, 0
	.set _Z16warp_load_kernelILj256ELj16ELj32ELN6hipcub17WarpLoadAlgorithmE3EdEvPT3_S3_.private_seg_size, 0
	.set _Z16warp_load_kernelILj256ELj16ELj32ELN6hipcub17WarpLoadAlgorithmE3EdEvPT3_S3_.uses_vcc, 1
	.set _Z16warp_load_kernelILj256ELj16ELj32ELN6hipcub17WarpLoadAlgorithmE3EdEvPT3_S3_.uses_flat_scratch, 0
	.set _Z16warp_load_kernelILj256ELj16ELj32ELN6hipcub17WarpLoadAlgorithmE3EdEvPT3_S3_.has_dyn_sized_stack, 0
	.set _Z16warp_load_kernelILj256ELj16ELj32ELN6hipcub17WarpLoadAlgorithmE3EdEvPT3_S3_.has_recursion, 0
	.set _Z16warp_load_kernelILj256ELj16ELj32ELN6hipcub17WarpLoadAlgorithmE3EdEvPT3_S3_.has_indirect_call, 0
	.section	.AMDGPU.csdata,"",@progbits
; Kernel info:
; codeLenInByte = 992
; TotalNumSgprs: 11
; NumVgprs: 49
; ScratchSize: 0
; MemoryBound: 1
; FloatMode: 240
; IeeeMode: 1
; LDSByteSize: 32768 bytes/workgroup (compile time only)
; SGPRBlocks: 12
; VGPRBlocks: 21
; NumSGPRsForWavesPerEU: 102
; NumVGPRsForWavesPerEU: 85
; Occupancy: 2
; WaveLimiterHint : 1
; COMPUTE_PGM_RSRC2:SCRATCH_EN: 0
; COMPUTE_PGM_RSRC2:USER_SGPR: 6
; COMPUTE_PGM_RSRC2:TRAP_HANDLER: 0
; COMPUTE_PGM_RSRC2:TGID_X_EN: 1
; COMPUTE_PGM_RSRC2:TGID_Y_EN: 0
; COMPUTE_PGM_RSRC2:TGID_Z_EN: 0
; COMPUTE_PGM_RSRC2:TIDIG_COMP_CNT: 0
	.section	.text._Z16warp_load_kernelILj256ELj32ELj32ELN6hipcub17WarpLoadAlgorithmE0EdEvPT3_S3_,"axG",@progbits,_Z16warp_load_kernelILj256ELj32ELj32ELN6hipcub17WarpLoadAlgorithmE0EdEvPT3_S3_,comdat
	.protected	_Z16warp_load_kernelILj256ELj32ELj32ELN6hipcub17WarpLoadAlgorithmE0EdEvPT3_S3_ ; -- Begin function _Z16warp_load_kernelILj256ELj32ELj32ELN6hipcub17WarpLoadAlgorithmE0EdEvPT3_S3_
	.globl	_Z16warp_load_kernelILj256ELj32ELj32ELN6hipcub17WarpLoadAlgorithmE0EdEvPT3_S3_
	.p2align	8
	.type	_Z16warp_load_kernelILj256ELj32ELj32ELN6hipcub17WarpLoadAlgorithmE0EdEvPT3_S3_,@function
_Z16warp_load_kernelILj256ELj32ELj32ELN6hipcub17WarpLoadAlgorithmE0EdEvPT3_S3_: ; @_Z16warp_load_kernelILj256ELj32ELj32ELN6hipcub17WarpLoadAlgorithmE0EdEvPT3_S3_
; %bb.0:
	v_mbcnt_lo_u32_b32 v1, -1, 0
	s_load_dwordx4 s[0:3], s[4:5], 0x0
	v_mbcnt_hi_u32_b32 v3, -1, v1
	v_lshlrev_b32_e32 v1, 5, v0
	s_lshl_b32 s4, s6, 13
	v_and_b32_e32 v1, 0x1c00, v1
	v_or_b32_e32 v65, s4, v1
	v_mov_b32_e32 v66, 0
	v_lshlrev_b64 v[1:2], 3, v[65:66]
	s_waitcnt lgkmcnt(0)
	v_mov_b32_e32 v4, s1
	v_add_co_u32_e32 v1, vcc, s0, v1
	v_lshlrev_b32_e32 v3, 8, v3
	v_addc_co_u32_e32 v2, vcc, v4, v2, vcc
	v_and_b32_e32 v3, 0x1f00, v3
	v_add_co_u32_e32 v67, vcc, v1, v3
	v_addc_co_u32_e32 v68, vcc, 0, v2, vcc
	global_load_dwordx4 v[1:4], v[67:68], off
	global_load_dwordx4 v[5:8], v[67:68], off offset:16
	global_load_dwordx4 v[9:12], v[67:68], off offset:32
	;; [unrolled: 1-line block ×5, first 2 shown]
	v_or_b32_e32 v65, s4, v0
	v_lshlrev_b64 v[35:36], 3, v[65:66]
	v_mov_b32_e32 v26, v66
	v_or_b32_e32 v25, 0x200, v65
	v_mov_b32_e32 v0, s3
	v_lshlrev_b64 v[25:26], 3, v[25:26]
	v_add_co_u32_e32 v71, vcc, s2, v35
	v_mov_b32_e32 v28, v66
	v_or_b32_e32 v27, 0x300, v65
	v_addc_co_u32_e32 v72, vcc, v0, v36, vcc
	v_mov_b32_e32 v37, s3
	v_lshlrev_b64 v[27:28], 3, v[27:28]
	v_add_co_u32_e32 v73, vcc, s2, v25
	v_mov_b32_e32 v30, v66
	v_or_b32_e32 v29, 0x400, v65
	v_addc_co_u32_e32 v74, vcc, v37, v26, vcc
	;; [unrolled: 6-line block ×3, first 2 shown]
	v_mov_b32_e32 v39, s3
	v_lshlrev_b64 v[31:32], 3, v[31:32]
	v_add_co_u32_e32 v77, vcc, s2, v29
	v_addc_co_u32_e32 v78, vcc, v39, v30, vcc
	v_mov_b32_e32 v34, v66
	v_or_b32_e32 v33, 0x600, v65
	v_mov_b32_e32 v40, s3
	v_add_co_u32_e32 v79, vcc, s2, v31
	v_lshlrev_b64 v[69:70], 3, v[33:34]
	v_addc_co_u32_e32 v80, vcc, v40, v32, vcc
	global_load_dwordx4 v[25:28], v[67:68], off offset:112
	global_load_dwordx4 v[29:32], v[67:68], off offset:96
	;; [unrolled: 1-line block ×10, first 2 shown]
	v_mov_b32_e32 v81, s3
	v_add_co_u32_e32 v0, vcc, s2, v69
	s_waitcnt vmcnt(15)
	global_store_dwordx2 v[71:72], v[1:2], off
	global_store_dwordx2 v[71:72], v[3:4], off offset:2048
	s_waitcnt vmcnt(16)
	global_store_dwordx2 v[73:74], v[5:6], off
	global_store_dwordx2 v[75:76], v[7:8], off
	s_waitcnt vmcnt(17)
	global_store_dwordx2 v[77:78], v[9:10], off
	global_store_dwordx2 v[79:80], v[11:12], off
	v_or_b32_e32 v2, 0x700, v65
	v_mov_b32_e32 v3, v66
	v_lshlrev_b64 v[2:3], 3, v[2:3]
	v_addc_co_u32_e32 v1, vcc, v81, v70, vcc
	v_mov_b32_e32 v4, s3
	v_add_co_u32_e32 v2, vcc, s2, v2
	v_addc_co_u32_e32 v3, vcc, v4, v3, vcc
	s_waitcnt vmcnt(18)
	global_store_dwordx2 v[0:1], v[13:14], off
	global_store_dwordx2 v[2:3], v[15:16], off
	v_or_b32_e32 v0, 0x800, v65
	v_mov_b32_e32 v1, v66
	v_lshlrev_b64 v[0:1], 3, v[0:1]
	v_mov_b32_e32 v2, s3
	v_add_co_u32_e32 v0, vcc, s2, v0
	v_addc_co_u32_e32 v1, vcc, v2, v1, vcc
	v_or_b32_e32 v2, 0x900, v65
	v_mov_b32_e32 v3, v66
	v_lshlrev_b64 v[2:3], 3, v[2:3]
	v_add_co_u32_e32 v2, vcc, s2, v2
	v_addc_co_u32_e32 v3, vcc, v4, v3, vcc
	s_waitcnt vmcnt(18)
	global_store_dwordx2 v[0:1], v[21:22], off
	global_store_dwordx2 v[2:3], v[23:24], off
	v_or_b32_e32 v0, 0xa00, v65
	v_mov_b32_e32 v1, v66
	v_lshlrev_b64 v[0:1], 3, v[0:1]
	v_mov_b32_e32 v2, s3
	v_add_co_u32_e32 v0, vcc, s2, v0
	v_addc_co_u32_e32 v1, vcc, v2, v1, vcc
	v_or_b32_e32 v2, 0xb00, v65
	v_mov_b32_e32 v3, v66
	v_lshlrev_b64 v[2:3], 3, v[2:3]
	v_add_co_u32_e32 v2, vcc, s2, v2
	v_addc_co_u32_e32 v3, vcc, v4, v3, vcc
	global_store_dwordx2 v[0:1], v[17:18], off
	global_store_dwordx2 v[2:3], v[19:20], off
	v_or_b32_e32 v0, 0xc00, v65
	v_mov_b32_e32 v1, v66
	v_lshlrev_b64 v[0:1], 3, v[0:1]
	v_mov_b32_e32 v2, s3
	v_add_co_u32_e32 v0, vcc, s2, v0
	v_addc_co_u32_e32 v1, vcc, v2, v1, vcc
	v_or_b32_e32 v2, 0xd00, v65
	v_mov_b32_e32 v3, v66
	v_lshlrev_b64 v[2:3], 3, v[2:3]
	v_add_co_u32_e32 v2, vcc, s2, v2
	v_addc_co_u32_e32 v3, vcc, v4, v3, vcc
	s_waitcnt vmcnt(20)
	global_store_dwordx2 v[0:1], v[29:30], off
	global_store_dwordx2 v[2:3], v[31:32], off
	v_or_b32_e32 v0, 0xe00, v65
	v_mov_b32_e32 v1, v66
	v_lshlrev_b64 v[0:1], 3, v[0:1]
	v_mov_b32_e32 v2, s3
	v_add_co_u32_e32 v0, vcc, s2, v0
	v_addc_co_u32_e32 v1, vcc, v2, v1, vcc
	v_or_b32_e32 v2, 0xf00, v65
	v_mov_b32_e32 v3, v66
	v_lshlrev_b64 v[2:3], 3, v[2:3]
	v_add_co_u32_e32 v2, vcc, s2, v2
	v_addc_co_u32_e32 v3, vcc, v4, v3, vcc
	;; [unrolled: 27-line block ×3, first 2 shown]
	global_store_dwordx2 v[0:1], v[41:42], off
	global_store_dwordx2 v[2:3], v[43:44], off
	v_or_b32_e32 v0, 0x1400, v65
	v_mov_b32_e32 v1, v66
	v_lshlrev_b64 v[0:1], 3, v[0:1]
	v_mov_b32_e32 v2, s3
	v_add_co_u32_e32 v0, vcc, s2, v0
	v_addc_co_u32_e32 v1, vcc, v2, v1, vcc
	v_or_b32_e32 v2, 0x1500, v65
	v_mov_b32_e32 v3, v66
	v_lshlrev_b64 v[2:3], 3, v[2:3]
	v_add_co_u32_e32 v2, vcc, s2, v2
	v_addc_co_u32_e32 v3, vcc, v4, v3, vcc
	global_store_dwordx2 v[0:1], v[37:38], off
	global_store_dwordx2 v[2:3], v[39:40], off
	v_or_b32_e32 v0, 0x1600, v65
	v_mov_b32_e32 v1, v66
	v_lshlrev_b64 v[0:1], 3, v[0:1]
	v_mov_b32_e32 v2, s3
	v_add_co_u32_e32 v0, vcc, s2, v0
	v_addc_co_u32_e32 v1, vcc, v2, v1, vcc
	v_or_b32_e32 v2, 0x1700, v65
	v_mov_b32_e32 v3, v66
	v_lshlrev_b64 v[2:3], 3, v[2:3]
	v_add_co_u32_e32 v2, vcc, s2, v2
	v_addc_co_u32_e32 v3, vcc, v4, v3, vcc
	;; [unrolled: 13-line block ×3, first 2 shown]
	s_waitcnt vmcnt(24)
	global_store_dwordx2 v[0:1], v[61:62], off
	global_store_dwordx2 v[2:3], v[63:64], off
	v_or_b32_e32 v0, 0x1a00, v65
	v_mov_b32_e32 v1, v66
	v_lshlrev_b64 v[0:1], 3, v[0:1]
	v_mov_b32_e32 v2, s3
	v_add_co_u32_e32 v0, vcc, s2, v0
	v_addc_co_u32_e32 v1, vcc, v2, v1, vcc
	global_store_dwordx2 v[0:1], v[57:58], off
	v_or_b32_e32 v0, 0x1b00, v65
	v_mov_b32_e32 v1, v66
	v_lshlrev_b64 v[0:1], 3, v[0:1]
	v_add_co_u32_e32 v0, vcc, s2, v0
	v_addc_co_u32_e32 v1, vcc, v2, v1, vcc
	global_store_dwordx2 v[0:1], v[59:60], off
	v_or_b32_e32 v0, 0x1c00, v65
	v_mov_b32_e32 v1, v66
	v_lshlrev_b64 v[0:1], 3, v[0:1]
	;; [unrolled: 6-line block ×4, first 2 shown]
	v_or_b32_e32 v65, 0x1f00, v65
	v_add_co_u32_e32 v0, vcc, s2, v0
	v_addc_co_u32_e32 v1, vcc, v2, v1, vcc
	global_store_dwordx2 v[0:1], v[49:50], off
	v_lshlrev_b64 v[0:1], 3, v[65:66]
	v_add_co_u32_e32 v0, vcc, s2, v0
	v_addc_co_u32_e32 v1, vcc, v2, v1, vcc
	global_store_dwordx2 v[0:1], v[51:52], off
	s_endpgm
	.section	.rodata,"a",@progbits
	.p2align	6, 0x0
	.amdhsa_kernel _Z16warp_load_kernelILj256ELj32ELj32ELN6hipcub17WarpLoadAlgorithmE0EdEvPT3_S3_
		.amdhsa_group_segment_fixed_size 0
		.amdhsa_private_segment_fixed_size 0
		.amdhsa_kernarg_size 16
		.amdhsa_user_sgpr_count 6
		.amdhsa_user_sgpr_private_segment_buffer 1
		.amdhsa_user_sgpr_dispatch_ptr 0
		.amdhsa_user_sgpr_queue_ptr 0
		.amdhsa_user_sgpr_kernarg_segment_ptr 1
		.amdhsa_user_sgpr_dispatch_id 0
		.amdhsa_user_sgpr_flat_scratch_init 0
		.amdhsa_user_sgpr_private_segment_size 0
		.amdhsa_uses_dynamic_stack 0
		.amdhsa_system_sgpr_private_segment_wavefront_offset 0
		.amdhsa_system_sgpr_workgroup_id_x 1
		.amdhsa_system_sgpr_workgroup_id_y 0
		.amdhsa_system_sgpr_workgroup_id_z 0
		.amdhsa_system_sgpr_workgroup_info 0
		.amdhsa_system_vgpr_workitem_id 0
		.amdhsa_next_free_vgpr 82
		.amdhsa_next_free_sgpr 7
		.amdhsa_reserve_vcc 1
		.amdhsa_reserve_flat_scratch 0
		.amdhsa_float_round_mode_32 0
		.amdhsa_float_round_mode_16_64 0
		.amdhsa_float_denorm_mode_32 3
		.amdhsa_float_denorm_mode_16_64 3
		.amdhsa_dx10_clamp 1
		.amdhsa_ieee_mode 1
		.amdhsa_fp16_overflow 0
		.amdhsa_exception_fp_ieee_invalid_op 0
		.amdhsa_exception_fp_denorm_src 0
		.amdhsa_exception_fp_ieee_div_zero 0
		.amdhsa_exception_fp_ieee_overflow 0
		.amdhsa_exception_fp_ieee_underflow 0
		.amdhsa_exception_fp_ieee_inexact 0
		.amdhsa_exception_int_div_zero 0
	.end_amdhsa_kernel
	.section	.text._Z16warp_load_kernelILj256ELj32ELj32ELN6hipcub17WarpLoadAlgorithmE0EdEvPT3_S3_,"axG",@progbits,_Z16warp_load_kernelILj256ELj32ELj32ELN6hipcub17WarpLoadAlgorithmE0EdEvPT3_S3_,comdat
.Lfunc_end31:
	.size	_Z16warp_load_kernelILj256ELj32ELj32ELN6hipcub17WarpLoadAlgorithmE0EdEvPT3_S3_, .Lfunc_end31-_Z16warp_load_kernelILj256ELj32ELj32ELN6hipcub17WarpLoadAlgorithmE0EdEvPT3_S3_
                                        ; -- End function
	.set _Z16warp_load_kernelILj256ELj32ELj32ELN6hipcub17WarpLoadAlgorithmE0EdEvPT3_S3_.num_vgpr, 82
	.set _Z16warp_load_kernelILj256ELj32ELj32ELN6hipcub17WarpLoadAlgorithmE0EdEvPT3_S3_.num_agpr, 0
	.set _Z16warp_load_kernelILj256ELj32ELj32ELN6hipcub17WarpLoadAlgorithmE0EdEvPT3_S3_.numbered_sgpr, 7
	.set _Z16warp_load_kernelILj256ELj32ELj32ELN6hipcub17WarpLoadAlgorithmE0EdEvPT3_S3_.num_named_barrier, 0
	.set _Z16warp_load_kernelILj256ELj32ELj32ELN6hipcub17WarpLoadAlgorithmE0EdEvPT3_S3_.private_seg_size, 0
	.set _Z16warp_load_kernelILj256ELj32ELj32ELN6hipcub17WarpLoadAlgorithmE0EdEvPT3_S3_.uses_vcc, 1
	.set _Z16warp_load_kernelILj256ELj32ELj32ELN6hipcub17WarpLoadAlgorithmE0EdEvPT3_S3_.uses_flat_scratch, 0
	.set _Z16warp_load_kernelILj256ELj32ELj32ELN6hipcub17WarpLoadAlgorithmE0EdEvPT3_S3_.has_dyn_sized_stack, 0
	.set _Z16warp_load_kernelILj256ELj32ELj32ELN6hipcub17WarpLoadAlgorithmE0EdEvPT3_S3_.has_recursion, 0
	.set _Z16warp_load_kernelILj256ELj32ELj32ELN6hipcub17WarpLoadAlgorithmE0EdEvPT3_S3_.has_indirect_call, 0
	.section	.AMDGPU.csdata,"",@progbits
; Kernel info:
; codeLenInByte = 1436
; TotalNumSgprs: 11
; NumVgprs: 82
; ScratchSize: 0
; MemoryBound: 1
; FloatMode: 240
; IeeeMode: 1
; LDSByteSize: 0 bytes/workgroup (compile time only)
; SGPRBlocks: 1
; VGPRBlocks: 20
; NumSGPRsForWavesPerEU: 11
; NumVGPRsForWavesPerEU: 82
; Occupancy: 3
; WaveLimiterHint : 1
; COMPUTE_PGM_RSRC2:SCRATCH_EN: 0
; COMPUTE_PGM_RSRC2:USER_SGPR: 6
; COMPUTE_PGM_RSRC2:TRAP_HANDLER: 0
; COMPUTE_PGM_RSRC2:TGID_X_EN: 1
; COMPUTE_PGM_RSRC2:TGID_Y_EN: 0
; COMPUTE_PGM_RSRC2:TGID_Z_EN: 0
; COMPUTE_PGM_RSRC2:TIDIG_COMP_CNT: 0
	.section	.text._Z16warp_load_kernelILj256ELj32ELj32ELN6hipcub17WarpLoadAlgorithmE1EdEvPT3_S3_,"axG",@progbits,_Z16warp_load_kernelILj256ELj32ELj32ELN6hipcub17WarpLoadAlgorithmE1EdEvPT3_S3_,comdat
	.protected	_Z16warp_load_kernelILj256ELj32ELj32ELN6hipcub17WarpLoadAlgorithmE1EdEvPT3_S3_ ; -- Begin function _Z16warp_load_kernelILj256ELj32ELj32ELN6hipcub17WarpLoadAlgorithmE1EdEvPT3_S3_
	.globl	_Z16warp_load_kernelILj256ELj32ELj32ELN6hipcub17WarpLoadAlgorithmE1EdEvPT3_S3_
	.p2align	8
	.type	_Z16warp_load_kernelILj256ELj32ELj32ELN6hipcub17WarpLoadAlgorithmE1EdEvPT3_S3_,@function
_Z16warp_load_kernelILj256ELj32ELj32ELN6hipcub17WarpLoadAlgorithmE1EdEvPT3_S3_: ; @_Z16warp_load_kernelILj256ELj32ELj32ELN6hipcub17WarpLoadAlgorithmE1EdEvPT3_S3_
; %bb.0:
	v_mbcnt_lo_u32_b32 v1, -1, 0
	v_mbcnt_hi_u32_b32 v1, -1, v1
	s_load_dwordx4 s[0:3], s[4:5], 0x0
	v_and_b32_e32 v5, 31, v1
	v_lshlrev_b32_e32 v1, 5, v0
	s_lshl_b32 s4, s6, 13
	v_and_b32_e32 v1, 0x1c00, v1
	v_or_b32_e32 v1, s4, v1
	v_mov_b32_e32 v2, 0
	v_lshlrev_b64 v[3:4], 3, v[1:2]
	s_waitcnt lgkmcnt(0)
	v_mov_b32_e32 v1, s1
	v_add_co_u32_e32 v3, vcc, s0, v3
	v_addc_co_u32_e32 v1, vcc, v1, v4, vcc
	v_lshlrev_b32_e32 v4, 3, v5
	v_add_co_u32_e32 v3, vcc, v3, v4
	v_addc_co_u32_e32 v4, vcc, 0, v1, vcc
	global_load_dwordx2 v[5:6], v[3:4], off
	global_load_dwordx2 v[7:8], v[3:4], off offset:256
	global_load_dwordx2 v[9:10], v[3:4], off offset:512
	;; [unrolled: 1-line block ×8, first 2 shown]
	v_or_b32_e32 v1, s4, v0
	v_lshlrev_b64 v[25:26], 3, v[1:2]
	v_mov_b32_e32 v18, v2
	v_or_b32_e32 v17, 0x200, v1
	v_mov_b32_e32 v0, s3
	v_lshlrev_b64 v[17:18], 3, v[17:18]
	v_add_co_u32_e32 v25, vcc, s2, v25
	v_mov_b32_e32 v20, v2
	v_or_b32_e32 v19, 0x300, v1
	v_addc_co_u32_e32 v26, vcc, v0, v26, vcc
	v_mov_b32_e32 v31, s3
	v_lshlrev_b64 v[19:20], 3, v[19:20]
	v_add_co_u32_e32 v17, vcc, s2, v17
	v_addc_co_u32_e32 v18, vcc, v31, v18, vcc
	v_mov_b32_e32 v32, s3
	v_add_co_u32_e32 v19, vcc, s2, v19
	v_addc_co_u32_e32 v20, vcc, v32, v20, vcc
	global_load_dwordx2 v[31:32], v[3:4], off offset:2304
	s_movk_i32 s0, 0x1000
	v_add_co_u32_e32 v33, vcc, s0, v3
	v_addc_co_u32_e32 v34, vcc, 0, v4, vcc
	global_load_dwordx2 v[35:36], v[3:4], off offset:2560
	global_load_dwordx2 v[37:38], v[3:4], off offset:2816
	;; [unrolled: 1-line block ×6, first 2 shown]
	global_load_dwordx2 v[47:48], v[33:34], off
	global_load_dwordx2 v[49:50], v[33:34], off offset:256
	global_load_dwordx2 v[51:52], v[33:34], off offset:512
	;; [unrolled: 1-line block ×8, first 2 shown]
                                        ; kill: killed $vgpr3 killed $vgpr4
	global_load_dwordx2 v[3:4], v[33:34], off offset:2304
	global_load_dwordx2 v[65:66], v[33:34], off offset:2560
	;; [unrolled: 1-line block ×7, first 2 shown]
	v_mov_b32_e32 v22, v2
	v_or_b32_e32 v21, 0x400, v1
	v_lshlrev_b64 v[21:22], 3, v[21:22]
	s_waitcnt vmcnt(31)
	global_store_dwordx2 v[25:26], v[5:6], off
	s_waitcnt vmcnt(31)
	global_store_dwordx2 v[25:26], v[7:8], off offset:2048
	s_waitcnt vmcnt(31)
	global_store_dwordx2 v[17:18], v[9:10], off
	s_waitcnt vmcnt(31)
	global_store_dwordx2 v[19:20], v[11:12], off
	v_add_co_u32_e32 v5, vcc, s2, v21
	v_addc_co_u32_e32 v6, vcc, v0, v22, vcc
	s_waitcnt vmcnt(31)
	global_store_dwordx2 v[5:6], v[13:14], off
	v_or_b32_e32 v5, 0x500, v1
	v_mov_b32_e32 v6, v2
	v_lshlrev_b64 v[5:6], 3, v[5:6]
	v_add_co_u32_e32 v5, vcc, s2, v5
	v_addc_co_u32_e32 v6, vcc, v0, v6, vcc
	s_waitcnt vmcnt(31)
	global_store_dwordx2 v[5:6], v[15:16], off
	v_or_b32_e32 v5, 0x600, v1
	v_mov_b32_e32 v6, v2
	v_lshlrev_b64 v[5:6], 3, v[5:6]
	;; [unrolled: 7-line block ×26, first 2 shown]
	v_or_b32_e32 v1, 0x1f00, v1
	v_add_co_u32_e32 v3, vcc, s2, v3
	v_addc_co_u32_e32 v4, vcc, v0, v4, vcc
	v_lshlrev_b64 v[0:1], 3, v[1:2]
	v_mov_b32_e32 v2, s3
	v_add_co_u32_e32 v0, vcc, s2, v0
	v_addc_co_u32_e32 v1, vcc, v2, v1, vcc
	s_waitcnt vmcnt(31)
	global_store_dwordx2 v[3:4], v[73:74], off
	s_waitcnt vmcnt(31)
	global_store_dwordx2 v[0:1], v[75:76], off
	s_endpgm
	.section	.rodata,"a",@progbits
	.p2align	6, 0x0
	.amdhsa_kernel _Z16warp_load_kernelILj256ELj32ELj32ELN6hipcub17WarpLoadAlgorithmE1EdEvPT3_S3_
		.amdhsa_group_segment_fixed_size 0
		.amdhsa_private_segment_fixed_size 0
		.amdhsa_kernarg_size 16
		.amdhsa_user_sgpr_count 6
		.amdhsa_user_sgpr_private_segment_buffer 1
		.amdhsa_user_sgpr_dispatch_ptr 0
		.amdhsa_user_sgpr_queue_ptr 0
		.amdhsa_user_sgpr_kernarg_segment_ptr 1
		.amdhsa_user_sgpr_dispatch_id 0
		.amdhsa_user_sgpr_flat_scratch_init 0
		.amdhsa_user_sgpr_private_segment_size 0
		.amdhsa_uses_dynamic_stack 0
		.amdhsa_system_sgpr_private_segment_wavefront_offset 0
		.amdhsa_system_sgpr_workgroup_id_x 1
		.amdhsa_system_sgpr_workgroup_id_y 0
		.amdhsa_system_sgpr_workgroup_id_z 0
		.amdhsa_system_sgpr_workgroup_info 0
		.amdhsa_system_vgpr_workitem_id 0
		.amdhsa_next_free_vgpr 77
		.amdhsa_next_free_sgpr 7
		.amdhsa_reserve_vcc 1
		.amdhsa_reserve_flat_scratch 0
		.amdhsa_float_round_mode_32 0
		.amdhsa_float_round_mode_16_64 0
		.amdhsa_float_denorm_mode_32 3
		.amdhsa_float_denorm_mode_16_64 3
		.amdhsa_dx10_clamp 1
		.amdhsa_ieee_mode 1
		.amdhsa_fp16_overflow 0
		.amdhsa_exception_fp_ieee_invalid_op 0
		.amdhsa_exception_fp_denorm_src 0
		.amdhsa_exception_fp_ieee_div_zero 0
		.amdhsa_exception_fp_ieee_overflow 0
		.amdhsa_exception_fp_ieee_underflow 0
		.amdhsa_exception_fp_ieee_inexact 0
		.amdhsa_exception_int_div_zero 0
	.end_amdhsa_kernel
	.section	.text._Z16warp_load_kernelILj256ELj32ELj32ELN6hipcub17WarpLoadAlgorithmE1EdEvPT3_S3_,"axG",@progbits,_Z16warp_load_kernelILj256ELj32ELj32ELN6hipcub17WarpLoadAlgorithmE1EdEvPT3_S3_,comdat
.Lfunc_end32:
	.size	_Z16warp_load_kernelILj256ELj32ELj32ELN6hipcub17WarpLoadAlgorithmE1EdEvPT3_S3_, .Lfunc_end32-_Z16warp_load_kernelILj256ELj32ELj32ELN6hipcub17WarpLoadAlgorithmE1EdEvPT3_S3_
                                        ; -- End function
	.set _Z16warp_load_kernelILj256ELj32ELj32ELN6hipcub17WarpLoadAlgorithmE1EdEvPT3_S3_.num_vgpr, 77
	.set _Z16warp_load_kernelILj256ELj32ELj32ELN6hipcub17WarpLoadAlgorithmE1EdEvPT3_S3_.num_agpr, 0
	.set _Z16warp_load_kernelILj256ELj32ELj32ELN6hipcub17WarpLoadAlgorithmE1EdEvPT3_S3_.numbered_sgpr, 7
	.set _Z16warp_load_kernelILj256ELj32ELj32ELN6hipcub17WarpLoadAlgorithmE1EdEvPT3_S3_.num_named_barrier, 0
	.set _Z16warp_load_kernelILj256ELj32ELj32ELN6hipcub17WarpLoadAlgorithmE1EdEvPT3_S3_.private_seg_size, 0
	.set _Z16warp_load_kernelILj256ELj32ELj32ELN6hipcub17WarpLoadAlgorithmE1EdEvPT3_S3_.uses_vcc, 1
	.set _Z16warp_load_kernelILj256ELj32ELj32ELN6hipcub17WarpLoadAlgorithmE1EdEvPT3_S3_.uses_flat_scratch, 0
	.set _Z16warp_load_kernelILj256ELj32ELj32ELN6hipcub17WarpLoadAlgorithmE1EdEvPT3_S3_.has_dyn_sized_stack, 0
	.set _Z16warp_load_kernelILj256ELj32ELj32ELN6hipcub17WarpLoadAlgorithmE1EdEvPT3_S3_.has_recursion, 0
	.set _Z16warp_load_kernelILj256ELj32ELj32ELN6hipcub17WarpLoadAlgorithmE1EdEvPT3_S3_.has_indirect_call, 0
	.section	.AMDGPU.csdata,"",@progbits
; Kernel info:
; codeLenInByte = 1616
; TotalNumSgprs: 11
; NumVgprs: 77
; ScratchSize: 0
; MemoryBound: 1
; FloatMode: 240
; IeeeMode: 1
; LDSByteSize: 0 bytes/workgroup (compile time only)
; SGPRBlocks: 1
; VGPRBlocks: 19
; NumSGPRsForWavesPerEU: 11
; NumVGPRsForWavesPerEU: 77
; Occupancy: 3
; WaveLimiterHint : 1
; COMPUTE_PGM_RSRC2:SCRATCH_EN: 0
; COMPUTE_PGM_RSRC2:USER_SGPR: 6
; COMPUTE_PGM_RSRC2:TRAP_HANDLER: 0
; COMPUTE_PGM_RSRC2:TGID_X_EN: 1
; COMPUTE_PGM_RSRC2:TGID_Y_EN: 0
; COMPUTE_PGM_RSRC2:TGID_Z_EN: 0
; COMPUTE_PGM_RSRC2:TIDIG_COMP_CNT: 0
	.section	.text._Z16warp_load_kernelILj256ELj32ELj32ELN6hipcub17WarpLoadAlgorithmE2EdEvPT3_S3_,"axG",@progbits,_Z16warp_load_kernelILj256ELj32ELj32ELN6hipcub17WarpLoadAlgorithmE2EdEvPT3_S3_,comdat
	.protected	_Z16warp_load_kernelILj256ELj32ELj32ELN6hipcub17WarpLoadAlgorithmE2EdEvPT3_S3_ ; -- Begin function _Z16warp_load_kernelILj256ELj32ELj32ELN6hipcub17WarpLoadAlgorithmE2EdEvPT3_S3_
	.globl	_Z16warp_load_kernelILj256ELj32ELj32ELN6hipcub17WarpLoadAlgorithmE2EdEvPT3_S3_
	.p2align	8
	.type	_Z16warp_load_kernelILj256ELj32ELj32ELN6hipcub17WarpLoadAlgorithmE2EdEvPT3_S3_,@function
_Z16warp_load_kernelILj256ELj32ELj32ELN6hipcub17WarpLoadAlgorithmE2EdEvPT3_S3_: ; @_Z16warp_load_kernelILj256ELj32ELj32ELN6hipcub17WarpLoadAlgorithmE2EdEvPT3_S3_
; %bb.0:
	v_mbcnt_lo_u32_b32 v1, -1, 0
	s_load_dwordx4 s[0:3], s[4:5], 0x0
	v_mbcnt_hi_u32_b32 v3, -1, v1
	v_lshlrev_b32_e32 v1, 5, v0
	s_lshl_b32 s4, s6, 13
	v_and_b32_e32 v1, 0x1c00, v1
	v_or_b32_e32 v65, s4, v1
	v_mov_b32_e32 v66, 0
	v_lshlrev_b64 v[1:2], 3, v[65:66]
	s_waitcnt lgkmcnt(0)
	v_mov_b32_e32 v4, s1
	v_add_co_u32_e32 v1, vcc, s0, v1
	v_lshlrev_b32_e32 v3, 8, v3
	v_addc_co_u32_e32 v2, vcc, v4, v2, vcc
	v_and_b32_e32 v3, 0x1f00, v3
	v_add_co_u32_e32 v67, vcc, v1, v3
	v_addc_co_u32_e32 v68, vcc, 0, v2, vcc
	global_load_dwordx4 v[1:4], v[67:68], off
	global_load_dwordx4 v[5:8], v[67:68], off offset:16
	global_load_dwordx4 v[9:12], v[67:68], off offset:32
	;; [unrolled: 1-line block ×5, first 2 shown]
	v_or_b32_e32 v65, s4, v0
	v_lshlrev_b64 v[35:36], 3, v[65:66]
	v_mov_b32_e32 v26, v66
	v_or_b32_e32 v25, 0x200, v65
	v_mov_b32_e32 v0, s3
	v_lshlrev_b64 v[25:26], 3, v[25:26]
	v_add_co_u32_e32 v71, vcc, s2, v35
	v_mov_b32_e32 v28, v66
	v_or_b32_e32 v27, 0x300, v65
	v_addc_co_u32_e32 v72, vcc, v0, v36, vcc
	v_mov_b32_e32 v37, s3
	v_lshlrev_b64 v[27:28], 3, v[27:28]
	v_add_co_u32_e32 v73, vcc, s2, v25
	v_mov_b32_e32 v30, v66
	v_or_b32_e32 v29, 0x400, v65
	v_addc_co_u32_e32 v74, vcc, v37, v26, vcc
	v_mov_b32_e32 v38, s3
	v_lshlrev_b64 v[29:30], 3, v[29:30]
	v_add_co_u32_e32 v75, vcc, s2, v27
	v_mov_b32_e32 v32, v66
	v_or_b32_e32 v31, 0x500, v65
	v_addc_co_u32_e32 v76, vcc, v38, v28, vcc
	v_mov_b32_e32 v39, s3
	v_lshlrev_b64 v[31:32], 3, v[31:32]
	v_add_co_u32_e32 v77, vcc, s2, v29
	v_addc_co_u32_e32 v78, vcc, v39, v30, vcc
	v_mov_b32_e32 v34, v66
	v_or_b32_e32 v33, 0x600, v65
	v_mov_b32_e32 v40, s3
	v_add_co_u32_e32 v79, vcc, s2, v31
	v_lshlrev_b64 v[69:70], 3, v[33:34]
	v_addc_co_u32_e32 v80, vcc, v40, v32, vcc
	global_load_dwordx4 v[25:28], v[67:68], off offset:112
	global_load_dwordx4 v[29:32], v[67:68], off offset:96
	;; [unrolled: 1-line block ×10, first 2 shown]
	v_mov_b32_e32 v81, s3
	v_add_co_u32_e32 v0, vcc, s2, v69
	s_waitcnt vmcnt(15)
	global_store_dwordx2 v[71:72], v[1:2], off
	global_store_dwordx2 v[71:72], v[3:4], off offset:2048
	s_waitcnt vmcnt(16)
	global_store_dwordx2 v[73:74], v[5:6], off
	global_store_dwordx2 v[75:76], v[7:8], off
	s_waitcnt vmcnt(17)
	global_store_dwordx2 v[77:78], v[9:10], off
	global_store_dwordx2 v[79:80], v[11:12], off
	v_or_b32_e32 v2, 0x700, v65
	v_mov_b32_e32 v3, v66
	v_lshlrev_b64 v[2:3], 3, v[2:3]
	v_addc_co_u32_e32 v1, vcc, v81, v70, vcc
	v_mov_b32_e32 v4, s3
	v_add_co_u32_e32 v2, vcc, s2, v2
	v_addc_co_u32_e32 v3, vcc, v4, v3, vcc
	s_waitcnt vmcnt(18)
	global_store_dwordx2 v[0:1], v[13:14], off
	global_store_dwordx2 v[2:3], v[15:16], off
	v_or_b32_e32 v0, 0x800, v65
	v_mov_b32_e32 v1, v66
	v_lshlrev_b64 v[0:1], 3, v[0:1]
	v_mov_b32_e32 v2, s3
	v_add_co_u32_e32 v0, vcc, s2, v0
	v_addc_co_u32_e32 v1, vcc, v2, v1, vcc
	v_or_b32_e32 v2, 0x900, v65
	v_mov_b32_e32 v3, v66
	v_lshlrev_b64 v[2:3], 3, v[2:3]
	v_add_co_u32_e32 v2, vcc, s2, v2
	v_addc_co_u32_e32 v3, vcc, v4, v3, vcc
	s_waitcnt vmcnt(18)
	global_store_dwordx2 v[0:1], v[21:22], off
	global_store_dwordx2 v[2:3], v[23:24], off
	v_or_b32_e32 v0, 0xa00, v65
	v_mov_b32_e32 v1, v66
	v_lshlrev_b64 v[0:1], 3, v[0:1]
	v_mov_b32_e32 v2, s3
	v_add_co_u32_e32 v0, vcc, s2, v0
	v_addc_co_u32_e32 v1, vcc, v2, v1, vcc
	v_or_b32_e32 v2, 0xb00, v65
	v_mov_b32_e32 v3, v66
	v_lshlrev_b64 v[2:3], 3, v[2:3]
	v_add_co_u32_e32 v2, vcc, s2, v2
	v_addc_co_u32_e32 v3, vcc, v4, v3, vcc
	global_store_dwordx2 v[0:1], v[17:18], off
	global_store_dwordx2 v[2:3], v[19:20], off
	v_or_b32_e32 v0, 0xc00, v65
	v_mov_b32_e32 v1, v66
	v_lshlrev_b64 v[0:1], 3, v[0:1]
	v_mov_b32_e32 v2, s3
	v_add_co_u32_e32 v0, vcc, s2, v0
	v_addc_co_u32_e32 v1, vcc, v2, v1, vcc
	v_or_b32_e32 v2, 0xd00, v65
	v_mov_b32_e32 v3, v66
	v_lshlrev_b64 v[2:3], 3, v[2:3]
	v_add_co_u32_e32 v2, vcc, s2, v2
	v_addc_co_u32_e32 v3, vcc, v4, v3, vcc
	s_waitcnt vmcnt(20)
	global_store_dwordx2 v[0:1], v[29:30], off
	global_store_dwordx2 v[2:3], v[31:32], off
	v_or_b32_e32 v0, 0xe00, v65
	v_mov_b32_e32 v1, v66
	v_lshlrev_b64 v[0:1], 3, v[0:1]
	v_mov_b32_e32 v2, s3
	v_add_co_u32_e32 v0, vcc, s2, v0
	v_addc_co_u32_e32 v1, vcc, v2, v1, vcc
	v_or_b32_e32 v2, 0xf00, v65
	v_mov_b32_e32 v3, v66
	v_lshlrev_b64 v[2:3], 3, v[2:3]
	v_add_co_u32_e32 v2, vcc, s2, v2
	v_addc_co_u32_e32 v3, vcc, v4, v3, vcc
	;; [unrolled: 27-line block ×3, first 2 shown]
	global_store_dwordx2 v[0:1], v[41:42], off
	global_store_dwordx2 v[2:3], v[43:44], off
	v_or_b32_e32 v0, 0x1400, v65
	v_mov_b32_e32 v1, v66
	v_lshlrev_b64 v[0:1], 3, v[0:1]
	v_mov_b32_e32 v2, s3
	v_add_co_u32_e32 v0, vcc, s2, v0
	v_addc_co_u32_e32 v1, vcc, v2, v1, vcc
	v_or_b32_e32 v2, 0x1500, v65
	v_mov_b32_e32 v3, v66
	v_lshlrev_b64 v[2:3], 3, v[2:3]
	v_add_co_u32_e32 v2, vcc, s2, v2
	v_addc_co_u32_e32 v3, vcc, v4, v3, vcc
	global_store_dwordx2 v[0:1], v[37:38], off
	global_store_dwordx2 v[2:3], v[39:40], off
	v_or_b32_e32 v0, 0x1600, v65
	v_mov_b32_e32 v1, v66
	v_lshlrev_b64 v[0:1], 3, v[0:1]
	v_mov_b32_e32 v2, s3
	v_add_co_u32_e32 v0, vcc, s2, v0
	v_addc_co_u32_e32 v1, vcc, v2, v1, vcc
	v_or_b32_e32 v2, 0x1700, v65
	v_mov_b32_e32 v3, v66
	v_lshlrev_b64 v[2:3], 3, v[2:3]
	v_add_co_u32_e32 v2, vcc, s2, v2
	v_addc_co_u32_e32 v3, vcc, v4, v3, vcc
	;; [unrolled: 13-line block ×3, first 2 shown]
	s_waitcnt vmcnt(24)
	global_store_dwordx2 v[0:1], v[61:62], off
	global_store_dwordx2 v[2:3], v[63:64], off
	v_or_b32_e32 v0, 0x1a00, v65
	v_mov_b32_e32 v1, v66
	v_lshlrev_b64 v[0:1], 3, v[0:1]
	v_mov_b32_e32 v2, s3
	v_add_co_u32_e32 v0, vcc, s2, v0
	v_addc_co_u32_e32 v1, vcc, v2, v1, vcc
	global_store_dwordx2 v[0:1], v[57:58], off
	v_or_b32_e32 v0, 0x1b00, v65
	v_mov_b32_e32 v1, v66
	v_lshlrev_b64 v[0:1], 3, v[0:1]
	v_add_co_u32_e32 v0, vcc, s2, v0
	v_addc_co_u32_e32 v1, vcc, v2, v1, vcc
	global_store_dwordx2 v[0:1], v[59:60], off
	v_or_b32_e32 v0, 0x1c00, v65
	v_mov_b32_e32 v1, v66
	v_lshlrev_b64 v[0:1], 3, v[0:1]
	;; [unrolled: 6-line block ×4, first 2 shown]
	v_or_b32_e32 v65, 0x1f00, v65
	v_add_co_u32_e32 v0, vcc, s2, v0
	v_addc_co_u32_e32 v1, vcc, v2, v1, vcc
	global_store_dwordx2 v[0:1], v[49:50], off
	v_lshlrev_b64 v[0:1], 3, v[65:66]
	v_add_co_u32_e32 v0, vcc, s2, v0
	v_addc_co_u32_e32 v1, vcc, v2, v1, vcc
	global_store_dwordx2 v[0:1], v[51:52], off
	s_endpgm
	.section	.rodata,"a",@progbits
	.p2align	6, 0x0
	.amdhsa_kernel _Z16warp_load_kernelILj256ELj32ELj32ELN6hipcub17WarpLoadAlgorithmE2EdEvPT3_S3_
		.amdhsa_group_segment_fixed_size 0
		.amdhsa_private_segment_fixed_size 0
		.amdhsa_kernarg_size 16
		.amdhsa_user_sgpr_count 6
		.amdhsa_user_sgpr_private_segment_buffer 1
		.amdhsa_user_sgpr_dispatch_ptr 0
		.amdhsa_user_sgpr_queue_ptr 0
		.amdhsa_user_sgpr_kernarg_segment_ptr 1
		.amdhsa_user_sgpr_dispatch_id 0
		.amdhsa_user_sgpr_flat_scratch_init 0
		.amdhsa_user_sgpr_private_segment_size 0
		.amdhsa_uses_dynamic_stack 0
		.amdhsa_system_sgpr_private_segment_wavefront_offset 0
		.amdhsa_system_sgpr_workgroup_id_x 1
		.amdhsa_system_sgpr_workgroup_id_y 0
		.amdhsa_system_sgpr_workgroup_id_z 0
		.amdhsa_system_sgpr_workgroup_info 0
		.amdhsa_system_vgpr_workitem_id 0
		.amdhsa_next_free_vgpr 82
		.amdhsa_next_free_sgpr 7
		.amdhsa_reserve_vcc 1
		.amdhsa_reserve_flat_scratch 0
		.amdhsa_float_round_mode_32 0
		.amdhsa_float_round_mode_16_64 0
		.amdhsa_float_denorm_mode_32 3
		.amdhsa_float_denorm_mode_16_64 3
		.amdhsa_dx10_clamp 1
		.amdhsa_ieee_mode 1
		.amdhsa_fp16_overflow 0
		.amdhsa_exception_fp_ieee_invalid_op 0
		.amdhsa_exception_fp_denorm_src 0
		.amdhsa_exception_fp_ieee_div_zero 0
		.amdhsa_exception_fp_ieee_overflow 0
		.amdhsa_exception_fp_ieee_underflow 0
		.amdhsa_exception_fp_ieee_inexact 0
		.amdhsa_exception_int_div_zero 0
	.end_amdhsa_kernel
	.section	.text._Z16warp_load_kernelILj256ELj32ELj32ELN6hipcub17WarpLoadAlgorithmE2EdEvPT3_S3_,"axG",@progbits,_Z16warp_load_kernelILj256ELj32ELj32ELN6hipcub17WarpLoadAlgorithmE2EdEvPT3_S3_,comdat
.Lfunc_end33:
	.size	_Z16warp_load_kernelILj256ELj32ELj32ELN6hipcub17WarpLoadAlgorithmE2EdEvPT3_S3_, .Lfunc_end33-_Z16warp_load_kernelILj256ELj32ELj32ELN6hipcub17WarpLoadAlgorithmE2EdEvPT3_S3_
                                        ; -- End function
	.set _Z16warp_load_kernelILj256ELj32ELj32ELN6hipcub17WarpLoadAlgorithmE2EdEvPT3_S3_.num_vgpr, 82
	.set _Z16warp_load_kernelILj256ELj32ELj32ELN6hipcub17WarpLoadAlgorithmE2EdEvPT3_S3_.num_agpr, 0
	.set _Z16warp_load_kernelILj256ELj32ELj32ELN6hipcub17WarpLoadAlgorithmE2EdEvPT3_S3_.numbered_sgpr, 7
	.set _Z16warp_load_kernelILj256ELj32ELj32ELN6hipcub17WarpLoadAlgorithmE2EdEvPT3_S3_.num_named_barrier, 0
	.set _Z16warp_load_kernelILj256ELj32ELj32ELN6hipcub17WarpLoadAlgorithmE2EdEvPT3_S3_.private_seg_size, 0
	.set _Z16warp_load_kernelILj256ELj32ELj32ELN6hipcub17WarpLoadAlgorithmE2EdEvPT3_S3_.uses_vcc, 1
	.set _Z16warp_load_kernelILj256ELj32ELj32ELN6hipcub17WarpLoadAlgorithmE2EdEvPT3_S3_.uses_flat_scratch, 0
	.set _Z16warp_load_kernelILj256ELj32ELj32ELN6hipcub17WarpLoadAlgorithmE2EdEvPT3_S3_.has_dyn_sized_stack, 0
	.set _Z16warp_load_kernelILj256ELj32ELj32ELN6hipcub17WarpLoadAlgorithmE2EdEvPT3_S3_.has_recursion, 0
	.set _Z16warp_load_kernelILj256ELj32ELj32ELN6hipcub17WarpLoadAlgorithmE2EdEvPT3_S3_.has_indirect_call, 0
	.section	.AMDGPU.csdata,"",@progbits
; Kernel info:
; codeLenInByte = 1436
; TotalNumSgprs: 11
; NumVgprs: 82
; ScratchSize: 0
; MemoryBound: 1
; FloatMode: 240
; IeeeMode: 1
; LDSByteSize: 0 bytes/workgroup (compile time only)
; SGPRBlocks: 1
; VGPRBlocks: 20
; NumSGPRsForWavesPerEU: 11
; NumVGPRsForWavesPerEU: 82
; Occupancy: 3
; WaveLimiterHint : 1
; COMPUTE_PGM_RSRC2:SCRATCH_EN: 0
; COMPUTE_PGM_RSRC2:USER_SGPR: 6
; COMPUTE_PGM_RSRC2:TRAP_HANDLER: 0
; COMPUTE_PGM_RSRC2:TGID_X_EN: 1
; COMPUTE_PGM_RSRC2:TGID_Y_EN: 0
; COMPUTE_PGM_RSRC2:TGID_Z_EN: 0
; COMPUTE_PGM_RSRC2:TIDIG_COMP_CNT: 0
	.section	.text._Z16warp_load_kernelILj256ELj64ELj32ELN6hipcub17WarpLoadAlgorithmE0EdEvPT3_S3_,"axG",@progbits,_Z16warp_load_kernelILj256ELj64ELj32ELN6hipcub17WarpLoadAlgorithmE0EdEvPT3_S3_,comdat
	.protected	_Z16warp_load_kernelILj256ELj64ELj32ELN6hipcub17WarpLoadAlgorithmE0EdEvPT3_S3_ ; -- Begin function _Z16warp_load_kernelILj256ELj64ELj32ELN6hipcub17WarpLoadAlgorithmE0EdEvPT3_S3_
	.globl	_Z16warp_load_kernelILj256ELj64ELj32ELN6hipcub17WarpLoadAlgorithmE0EdEvPT3_S3_
	.p2align	8
	.type	_Z16warp_load_kernelILj256ELj64ELj32ELN6hipcub17WarpLoadAlgorithmE0EdEvPT3_S3_,@function
_Z16warp_load_kernelILj256ELj64ELj32ELN6hipcub17WarpLoadAlgorithmE0EdEvPT3_S3_: ; @_Z16warp_load_kernelILj256ELj64ELj32ELN6hipcub17WarpLoadAlgorithmE0EdEvPT3_S3_
; %bb.0:
	v_mbcnt_lo_u32_b32 v1, -1, 0
	s_load_dwordx4 s[0:3], s[4:5], 0x0
	v_mbcnt_hi_u32_b32 v3, -1, v1
	v_lshlrev_b32_e32 v1, 6, v0
	s_lshl_b32 s4, s6, 14
	v_and_b32_e32 v1, 0x3800, v1
	v_or_b32_e32 v36, s4, v1
	v_mov_b32_e32 v37, 0
	v_lshlrev_b64 v[1:2], 3, v[36:37]
	s_waitcnt lgkmcnt(0)
	v_mov_b32_e32 v4, s1
	v_add_co_u32_e32 v1, vcc, s0, v1
	v_lshlrev_b32_e32 v3, 9, v3
	v_addc_co_u32_e32 v2, vcc, v4, v2, vcc
	v_and_b32_e32 v3, 0x3e00, v3
	v_add_co_u32_e32 v12, vcc, v1, v3
	v_addc_co_u32_e32 v13, vcc, 0, v2, vcc
	global_load_dwordx4 v[38:41], v[12:13], off
	global_load_dwordx4 v[42:45], v[12:13], off offset:16
	global_load_dwordx4 v[46:49], v[12:13], off offset:32
	global_load_dwordx4 v[50:53], v[12:13], off offset:48
	global_load_dwordx4 v[54:57], v[12:13], off offset:80
	global_load_dwordx4 v[58:61], v[12:13], off offset:64
	v_or_b32_e32 v36, s4, v0
	v_lshlrev_b64 v[6:7], 3, v[36:37]
	v_mov_b32_e32 v1, v37
	v_or_b32_e32 v0, 0x200, v36
	v_mov_b32_e32 v8, s3
	v_lshlrev_b64 v[0:1], 3, v[0:1]
	v_add_co_u32_e32 v130, vcc, s2, v6
	v_mov_b32_e32 v3, v37
	v_or_b32_e32 v2, 0x300, v36
	v_addc_co_u32_e32 v131, vcc, v8, v7, vcc
	v_mov_b32_e32 v9, s3
	v_lshlrev_b64 v[2:3], 3, v[2:3]
	v_add_co_u32_e32 v132, vcc, s2, v0
	v_mov_b32_e32 v5, v37
	v_or_b32_e32 v4, 0x400, v36
	v_addc_co_u32_e32 v133, vcc, v9, v1, vcc
	v_mov_b32_e32 v10, s3
	v_lshlrev_b64 v[4:5], 3, v[4:5]
	v_add_co_u32_e32 v134, vcc, s2, v2
	v_addc_co_u32_e32 v135, vcc, v10, v3, vcc
	v_mov_b32_e32 v11, s3
	v_add_co_u32_e32 v136, vcc, s2, v4
	v_addc_co_u32_e32 v137, vcc, v11, v5, vcc
	global_load_dwordx4 v[62:65], v[12:13], off offset:112
	global_load_dwordx4 v[66:69], v[12:13], off offset:96
	;; [unrolled: 1-line block ×25, first 2 shown]
	s_nop 0
	global_load_dwordx4 v[12:15], v[12:13], off offset:448
	s_waitcnt vmcnt(31)
	global_store_dwordx2 v[130:131], v[38:39], off
	global_store_dwordx2 v[130:131], v[40:41], off offset:2048
	s_waitcnt vmcnt(32)
	global_store_dwordx2 v[132:133], v[42:43], off
	global_store_dwordx2 v[134:135], v[44:45], off
	v_or_b32_e32 v38, 0x500, v36
	v_mov_b32_e32 v39, v37
	v_lshlrev_b64 v[38:39], 3, v[38:39]
	v_mov_b32_e32 v40, s3
	v_add_co_u32_e32 v38, vcc, s2, v38
	v_addc_co_u32_e32 v39, vcc, v40, v39, vcc
	s_waitcnt vmcnt(33)
	global_store_dwordx2 v[136:137], v[46:47], off
	global_store_dwordx2 v[38:39], v[48:49], off
	v_or_b32_e32 v38, 0x600, v36
	v_mov_b32_e32 v39, v37
	v_lshlrev_b64 v[38:39], 3, v[38:39]
	v_mov_b32_e32 v41, v37
	v_add_co_u32_e32 v38, vcc, s2, v38
	v_addc_co_u32_e32 v39, vcc, v40, v39, vcc
	v_or_b32_e32 v40, 0x700, v36
	v_lshlrev_b64 v[40:41], 3, v[40:41]
	v_mov_b32_e32 v42, s3
	v_add_co_u32_e32 v40, vcc, s2, v40
	v_addc_co_u32_e32 v41, vcc, v42, v41, vcc
	s_waitcnt vmcnt(34)
	global_store_dwordx2 v[38:39], v[50:51], off
	global_store_dwordx2 v[40:41], v[52:53], off
	v_or_b32_e32 v38, 0x800, v36
	v_mov_b32_e32 v39, v37
	v_lshlrev_b64 v[38:39], 3, v[38:39]
	v_mov_b32_e32 v40, s3
	v_add_co_u32_e32 v38, vcc, s2, v38
	v_addc_co_u32_e32 v39, vcc, v40, v39, vcc
	v_or_b32_e32 v40, 0x900, v36
	v_mov_b32_e32 v41, v37
	v_lshlrev_b64 v[40:41], 3, v[40:41]
	v_add_co_u32_e32 v40, vcc, s2, v40
	v_addc_co_u32_e32 v41, vcc, v42, v41, vcc
	s_waitcnt vmcnt(34)
	global_store_dwordx2 v[38:39], v[58:59], off
	global_store_dwordx2 v[40:41], v[60:61], off
	v_or_b32_e32 v38, 0xa00, v36
	v_mov_b32_e32 v39, v37
	v_lshlrev_b64 v[38:39], 3, v[38:39]
	v_mov_b32_e32 v40, s3
	v_add_co_u32_e32 v38, vcc, s2, v38
	v_addc_co_u32_e32 v39, vcc, v40, v39, vcc
	v_or_b32_e32 v40, 0xb00, v36
	v_mov_b32_e32 v41, v37
	v_lshlrev_b64 v[40:41], 3, v[40:41]
	v_add_co_u32_e32 v40, vcc, s2, v40
	v_addc_co_u32_e32 v41, vcc, v42, v41, vcc
	global_store_dwordx2 v[38:39], v[54:55], off
	global_store_dwordx2 v[40:41], v[56:57], off
	v_or_b32_e32 v38, 0xc00, v36
	v_mov_b32_e32 v39, v37
	v_lshlrev_b64 v[38:39], 3, v[38:39]
	v_mov_b32_e32 v40, s3
	v_add_co_u32_e32 v38, vcc, s2, v38
	v_addc_co_u32_e32 v39, vcc, v40, v39, vcc
	v_or_b32_e32 v40, 0xd00, v36
	v_mov_b32_e32 v41, v37
	v_lshlrev_b64 v[40:41], 3, v[40:41]
	v_add_co_u32_e32 v40, vcc, s2, v40
	v_addc_co_u32_e32 v41, vcc, v42, v41, vcc
	s_waitcnt vmcnt(36)
	global_store_dwordx2 v[38:39], v[66:67], off
	global_store_dwordx2 v[40:41], v[68:69], off
	v_or_b32_e32 v38, 0xe00, v36
	v_mov_b32_e32 v39, v37
	v_lshlrev_b64 v[38:39], 3, v[38:39]
	v_mov_b32_e32 v40, s3
	v_add_co_u32_e32 v38, vcc, s2, v38
	v_addc_co_u32_e32 v39, vcc, v40, v39, vcc
	v_or_b32_e32 v40, 0xf00, v36
	v_mov_b32_e32 v41, v37
	v_lshlrev_b64 v[40:41], 3, v[40:41]
	v_add_co_u32_e32 v40, vcc, s2, v40
	v_addc_co_u32_e32 v41, vcc, v42, v41, vcc
	;; [unrolled: 27-line block ×3, first 2 shown]
	global_store_dwordx2 v[38:39], v[78:79], off
	global_store_dwordx2 v[40:41], v[80:81], off
	v_or_b32_e32 v38, 0x1400, v36
	v_mov_b32_e32 v39, v37
	v_lshlrev_b64 v[38:39], 3, v[38:39]
	v_mov_b32_e32 v40, s3
	v_add_co_u32_e32 v38, vcc, s2, v38
	v_addc_co_u32_e32 v39, vcc, v40, v39, vcc
	v_or_b32_e32 v40, 0x1500, v36
	v_mov_b32_e32 v41, v37
	v_lshlrev_b64 v[40:41], 3, v[40:41]
	v_add_co_u32_e32 v40, vcc, s2, v40
	v_addc_co_u32_e32 v41, vcc, v42, v41, vcc
	global_store_dwordx2 v[38:39], v[74:75], off
	global_store_dwordx2 v[40:41], v[76:77], off
	v_or_b32_e32 v38, 0x1600, v36
	v_mov_b32_e32 v39, v37
	v_lshlrev_b64 v[38:39], 3, v[38:39]
	v_mov_b32_e32 v40, s3
	v_add_co_u32_e32 v38, vcc, s2, v38
	v_addc_co_u32_e32 v39, vcc, v40, v39, vcc
	v_or_b32_e32 v40, 0x1700, v36
	v_mov_b32_e32 v41, v37
	v_lshlrev_b64 v[40:41], 3, v[40:41]
	v_add_co_u32_e32 v40, vcc, s2, v40
	v_addc_co_u32_e32 v41, vcc, v42, v41, vcc
	global_store_dwordx2 v[38:39], v[70:71], off
	global_store_dwordx2 v[40:41], v[72:73], off
	v_or_b32_e32 v38, 0x1800, v36
	v_mov_b32_e32 v39, v37
	v_lshlrev_b64 v[38:39], 3, v[38:39]
	v_mov_b32_e32 v40, s3
	v_add_co_u32_e32 v38, vcc, s2, v38
	v_addc_co_u32_e32 v39, vcc, v40, v39, vcc
	v_or_b32_e32 v40, 0x1900, v36
	v_mov_b32_e32 v41, v37
	v_lshlrev_b64 v[40:41], 3, v[40:41]
	v_add_co_u32_e32 v40, vcc, s2, v40
	v_addc_co_u32_e32 v41, vcc, v42, v41, vcc
	s_waitcnt vmcnt(40)
	global_store_dwordx2 v[38:39], v[98:99], off
	global_store_dwordx2 v[40:41], v[100:101], off
	v_or_b32_e32 v38, 0x1a00, v36
	v_mov_b32_e32 v39, v37
	v_lshlrev_b64 v[38:39], 3, v[38:39]
	v_mov_b32_e32 v40, s3
	v_add_co_u32_e32 v38, vcc, s2, v38
	v_addc_co_u32_e32 v39, vcc, v40, v39, vcc
	v_or_b32_e32 v40, 0x1b00, v36
	v_mov_b32_e32 v41, v37
	v_lshlrev_b64 v[40:41], 3, v[40:41]
	v_add_co_u32_e32 v40, vcc, s2, v40
	v_addc_co_u32_e32 v41, vcc, v42, v41, vcc
	global_store_dwordx2 v[38:39], v[94:95], off
	global_store_dwordx2 v[40:41], v[96:97], off
	v_or_b32_e32 v38, 0x1c00, v36
	v_mov_b32_e32 v39, v37
	v_lshlrev_b64 v[38:39], 3, v[38:39]
	v_mov_b32_e32 v40, s3
	v_add_co_u32_e32 v38, vcc, s2, v38
	v_addc_co_u32_e32 v39, vcc, v40, v39, vcc
	v_or_b32_e32 v40, 0x1d00, v36
	v_mov_b32_e32 v41, v37
	v_lshlrev_b64 v[40:41], 3, v[40:41]
	v_add_co_u32_e32 v40, vcc, s2, v40
	v_addc_co_u32_e32 v41, vcc, v42, v41, vcc
	global_store_dwordx2 v[38:39], v[90:91], off
	global_store_dwordx2 v[40:41], v[92:93], off
	v_or_b32_e32 v38, 0x1e00, v36
	v_mov_b32_e32 v39, v37
	v_lshlrev_b64 v[38:39], 3, v[38:39]
	v_mov_b32_e32 v40, s3
	v_add_co_u32_e32 v38, vcc, s2, v38
	v_addc_co_u32_e32 v39, vcc, v40, v39, vcc
	v_or_b32_e32 v40, 0x1f00, v36
	v_mov_b32_e32 v41, v37
	v_lshlrev_b64 v[40:41], 3, v[40:41]
	v_add_co_u32_e32 v40, vcc, s2, v40
	v_addc_co_u32_e32 v41, vcc, v42, v41, vcc
	global_store_dwordx2 v[38:39], v[86:87], off
	global_store_dwordx2 v[40:41], v[88:89], off
	v_or_b32_e32 v38, 0x2000, v36
	v_mov_b32_e32 v39, v37
	v_lshlrev_b64 v[38:39], 3, v[38:39]
	v_mov_b32_e32 v40, s3
	v_add_co_u32_e32 v38, vcc, s2, v38
	v_addc_co_u32_e32 v39, vcc, v40, v39, vcc
	v_or_b32_e32 v40, 0x2100, v36
	v_mov_b32_e32 v41, v37
	v_lshlrev_b64 v[40:41], 3, v[40:41]
	v_add_co_u32_e32 v40, vcc, s2, v40
	v_addc_co_u32_e32 v41, vcc, v42, v41, vcc
	s_waitcnt vmcnt(44)
	global_store_dwordx2 v[38:39], v[114:115], off
	global_store_dwordx2 v[40:41], v[116:117], off
	v_or_b32_e32 v38, 0x2200, v36
	v_mov_b32_e32 v39, v37
	v_lshlrev_b64 v[38:39], 3, v[38:39]
	v_mov_b32_e32 v40, s3
	v_add_co_u32_e32 v38, vcc, s2, v38
	v_addc_co_u32_e32 v39, vcc, v40, v39, vcc
	v_or_b32_e32 v40, 0x2300, v36
	v_mov_b32_e32 v41, v37
	v_lshlrev_b64 v[40:41], 3, v[40:41]
	v_add_co_u32_e32 v40, vcc, s2, v40
	v_addc_co_u32_e32 v41, vcc, v42, v41, vcc
	;; [unrolled: 53-line block ×3, first 2 shown]
	global_store_dwordx2 v[38:39], v[122:123], off
	global_store_dwordx2 v[40:41], v[124:125], off
	v_or_b32_e32 v38, 0x2c00, v36
	v_mov_b32_e32 v39, v37
	v_lshlrev_b64 v[38:39], 3, v[38:39]
	v_mov_b32_e32 v40, s3
	v_add_co_u32_e32 v38, vcc, s2, v38
	v_addc_co_u32_e32 v39, vcc, v40, v39, vcc
	v_or_b32_e32 v40, 0x2d00, v36
	v_mov_b32_e32 v41, v37
	v_lshlrev_b64 v[40:41], 3, v[40:41]
	v_add_co_u32_e32 v40, vcc, s2, v40
	v_addc_co_u32_e32 v41, vcc, v42, v41, vcc
	global_store_dwordx2 v[38:39], v[118:119], off
	global_store_dwordx2 v[40:41], v[120:121], off
	v_or_b32_e32 v38, 0x2e00, v36
	v_mov_b32_e32 v39, v37
	v_lshlrev_b64 v[38:39], 3, v[38:39]
	v_mov_b32_e32 v40, s3
	v_add_co_u32_e32 v38, vcc, s2, v38
	v_addc_co_u32_e32 v39, vcc, v40, v39, vcc
	v_or_b32_e32 v40, 0x2f00, v36
	v_mov_b32_e32 v41, v37
	v_lshlrev_b64 v[40:41], 3, v[40:41]
	v_add_co_u32_e32 v40, vcc, s2, v40
	v_addc_co_u32_e32 v41, vcc, v42, v41, vcc
	global_store_dwordx2 v[38:39], v[32:33], off
	global_store_dwordx2 v[40:41], v[34:35], off
	v_or_b32_e32 v32, 0x3000, v36
	v_mov_b32_e32 v33, v37
	v_lshlrev_b64 v[32:33], 3, v[32:33]
	v_mov_b32_e32 v34, s3
	v_add_co_u32_e32 v32, vcc, s2, v32
	v_addc_co_u32_e32 v33, vcc, v34, v33, vcc
	v_or_b32_e32 v34, 0x3100, v36
	v_mov_b32_e32 v35, v37
	v_lshlrev_b64 v[34:35], 3, v[34:35]
	v_mov_b32_e32 v38, s3
	v_add_co_u32_e32 v34, vcc, s2, v34
	v_addc_co_u32_e32 v35, vcc, v38, v35, vcc
	s_waitcnt vmcnt(52)
	global_store_dwordx2 v[32:33], v[28:29], off
	global_store_dwordx2 v[34:35], v[30:31], off
	v_or_b32_e32 v28, 0x3200, v36
	v_mov_b32_e32 v29, v37
	v_lshlrev_b64 v[28:29], 3, v[28:29]
	v_mov_b32_e32 v30, s3
	v_add_co_u32_e32 v28, vcc, s2, v28
	v_addc_co_u32_e32 v29, vcc, v30, v29, vcc
	v_or_b32_e32 v30, 0x3300, v36
	v_mov_b32_e32 v31, v37
	v_lshlrev_b64 v[30:31], 3, v[30:31]
	v_mov_b32_e32 v32, s3
	v_add_co_u32_e32 v30, vcc, s2, v30
	v_addc_co_u32_e32 v31, vcc, v32, v31, vcc
	global_store_dwordx2 v[28:29], v[24:25], off
	global_store_dwordx2 v[30:31], v[26:27], off
	v_or_b32_e32 v24, 0x3400, v36
	v_mov_b32_e32 v25, v37
	v_lshlrev_b64 v[24:25], 3, v[24:25]
	v_mov_b32_e32 v26, s3
	v_add_co_u32_e32 v24, vcc, s2, v24
	v_addc_co_u32_e32 v25, vcc, v26, v25, vcc
	v_or_b32_e32 v26, 0x3500, v36
	v_mov_b32_e32 v27, v37
	v_lshlrev_b64 v[26:27], 3, v[26:27]
	v_mov_b32_e32 v28, s3
	v_add_co_u32_e32 v26, vcc, s2, v26
	v_addc_co_u32_e32 v27, vcc, v28, v27, vcc
	;; [unrolled: 14-line block ×4, first 2 shown]
	s_waitcnt vmcnt(56)
	global_store_dwordx2 v[16:17], v[12:13], off
	global_store_dwordx2 v[18:19], v[14:15], off
	v_or_b32_e32 v12, 0x3a00, v36
	v_mov_b32_e32 v13, v37
	v_lshlrev_b64 v[12:13], 3, v[12:13]
	v_mov_b32_e32 v14, s3
	v_add_co_u32_e32 v12, vcc, s2, v12
	v_addc_co_u32_e32 v13, vcc, v14, v13, vcc
	global_store_dwordx2 v[12:13], v[8:9], off
	v_or_b32_e32 v8, 0x3b00, v36
	v_mov_b32_e32 v9, v37
	v_lshlrev_b64 v[8:9], 3, v[8:9]
	v_mov_b32_e32 v12, s3
	v_add_co_u32_e32 v8, vcc, s2, v8
	v_addc_co_u32_e32 v9, vcc, v12, v9, vcc
	;; [unrolled: 7-line block ×5, first 2 shown]
	v_or_b32_e32 v36, 0x3f00, v36
	global_store_dwordx2 v[4:5], v[0:1], off
	v_lshlrev_b64 v[0:1], 3, v[36:37]
	v_mov_b32_e32 v4, s3
	v_add_co_u32_e32 v0, vcc, s2, v0
	v_addc_co_u32_e32 v1, vcc, v4, v1, vcc
	global_store_dwordx2 v[0:1], v[2:3], off
	s_endpgm
	.section	.rodata,"a",@progbits
	.p2align	6, 0x0
	.amdhsa_kernel _Z16warp_load_kernelILj256ELj64ELj32ELN6hipcub17WarpLoadAlgorithmE0EdEvPT3_S3_
		.amdhsa_group_segment_fixed_size 0
		.amdhsa_private_segment_fixed_size 0
		.amdhsa_kernarg_size 16
		.amdhsa_user_sgpr_count 6
		.amdhsa_user_sgpr_private_segment_buffer 1
		.amdhsa_user_sgpr_dispatch_ptr 0
		.amdhsa_user_sgpr_queue_ptr 0
		.amdhsa_user_sgpr_kernarg_segment_ptr 1
		.amdhsa_user_sgpr_dispatch_id 0
		.amdhsa_user_sgpr_flat_scratch_init 0
		.amdhsa_user_sgpr_private_segment_size 0
		.amdhsa_uses_dynamic_stack 0
		.amdhsa_system_sgpr_private_segment_wavefront_offset 0
		.amdhsa_system_sgpr_workgroup_id_x 1
		.amdhsa_system_sgpr_workgroup_id_y 0
		.amdhsa_system_sgpr_workgroup_id_z 0
		.amdhsa_system_sgpr_workgroup_info 0
		.amdhsa_system_vgpr_workitem_id 0
		.amdhsa_next_free_vgpr 138
		.amdhsa_next_free_sgpr 7
		.amdhsa_reserve_vcc 1
		.amdhsa_reserve_flat_scratch 0
		.amdhsa_float_round_mode_32 0
		.amdhsa_float_round_mode_16_64 0
		.amdhsa_float_denorm_mode_32 3
		.amdhsa_float_denorm_mode_16_64 3
		.amdhsa_dx10_clamp 1
		.amdhsa_ieee_mode 1
		.amdhsa_fp16_overflow 0
		.amdhsa_exception_fp_ieee_invalid_op 0
		.amdhsa_exception_fp_denorm_src 0
		.amdhsa_exception_fp_ieee_div_zero 0
		.amdhsa_exception_fp_ieee_overflow 0
		.amdhsa_exception_fp_ieee_underflow 0
		.amdhsa_exception_fp_ieee_inexact 0
		.amdhsa_exception_int_div_zero 0
	.end_amdhsa_kernel
	.section	.text._Z16warp_load_kernelILj256ELj64ELj32ELN6hipcub17WarpLoadAlgorithmE0EdEvPT3_S3_,"axG",@progbits,_Z16warp_load_kernelILj256ELj64ELj32ELN6hipcub17WarpLoadAlgorithmE0EdEvPT3_S3_,comdat
.Lfunc_end34:
	.size	_Z16warp_load_kernelILj256ELj64ELj32ELN6hipcub17WarpLoadAlgorithmE0EdEvPT3_S3_, .Lfunc_end34-_Z16warp_load_kernelILj256ELj64ELj32ELN6hipcub17WarpLoadAlgorithmE0EdEvPT3_S3_
                                        ; -- End function
	.set _Z16warp_load_kernelILj256ELj64ELj32ELN6hipcub17WarpLoadAlgorithmE0EdEvPT3_S3_.num_vgpr, 138
	.set _Z16warp_load_kernelILj256ELj64ELj32ELN6hipcub17WarpLoadAlgorithmE0EdEvPT3_S3_.num_agpr, 0
	.set _Z16warp_load_kernelILj256ELj64ELj32ELN6hipcub17WarpLoadAlgorithmE0EdEvPT3_S3_.numbered_sgpr, 7
	.set _Z16warp_load_kernelILj256ELj64ELj32ELN6hipcub17WarpLoadAlgorithmE0EdEvPT3_S3_.num_named_barrier, 0
	.set _Z16warp_load_kernelILj256ELj64ELj32ELN6hipcub17WarpLoadAlgorithmE0EdEvPT3_S3_.private_seg_size, 0
	.set _Z16warp_load_kernelILj256ELj64ELj32ELN6hipcub17WarpLoadAlgorithmE0EdEvPT3_S3_.uses_vcc, 1
	.set _Z16warp_load_kernelILj256ELj64ELj32ELN6hipcub17WarpLoadAlgorithmE0EdEvPT3_S3_.uses_flat_scratch, 0
	.set _Z16warp_load_kernelILj256ELj64ELj32ELN6hipcub17WarpLoadAlgorithmE0EdEvPT3_S3_.has_dyn_sized_stack, 0
	.set _Z16warp_load_kernelILj256ELj64ELj32ELN6hipcub17WarpLoadAlgorithmE0EdEvPT3_S3_.has_recursion, 0
	.set _Z16warp_load_kernelILj256ELj64ELj32ELN6hipcub17WarpLoadAlgorithmE0EdEvPT3_S3_.has_indirect_call, 0
	.section	.AMDGPU.csdata,"",@progbits
; Kernel info:
; codeLenInByte = 2836
; TotalNumSgprs: 11
; NumVgprs: 138
; ScratchSize: 0
; MemoryBound: 1
; FloatMode: 240
; IeeeMode: 1
; LDSByteSize: 0 bytes/workgroup (compile time only)
; SGPRBlocks: 1
; VGPRBlocks: 34
; NumSGPRsForWavesPerEU: 11
; NumVGPRsForWavesPerEU: 138
; Occupancy: 1
; WaveLimiterHint : 1
; COMPUTE_PGM_RSRC2:SCRATCH_EN: 0
; COMPUTE_PGM_RSRC2:USER_SGPR: 6
; COMPUTE_PGM_RSRC2:TRAP_HANDLER: 0
; COMPUTE_PGM_RSRC2:TGID_X_EN: 1
; COMPUTE_PGM_RSRC2:TGID_Y_EN: 0
; COMPUTE_PGM_RSRC2:TGID_Z_EN: 0
; COMPUTE_PGM_RSRC2:TIDIG_COMP_CNT: 0
	.section	.text._Z16warp_load_kernelILj256ELj64ELj32ELN6hipcub17WarpLoadAlgorithmE1EdEvPT3_S3_,"axG",@progbits,_Z16warp_load_kernelILj256ELj64ELj32ELN6hipcub17WarpLoadAlgorithmE1EdEvPT3_S3_,comdat
	.protected	_Z16warp_load_kernelILj256ELj64ELj32ELN6hipcub17WarpLoadAlgorithmE1EdEvPT3_S3_ ; -- Begin function _Z16warp_load_kernelILj256ELj64ELj32ELN6hipcub17WarpLoadAlgorithmE1EdEvPT3_S3_
	.globl	_Z16warp_load_kernelILj256ELj64ELj32ELN6hipcub17WarpLoadAlgorithmE1EdEvPT3_S3_
	.p2align	8
	.type	_Z16warp_load_kernelILj256ELj64ELj32ELN6hipcub17WarpLoadAlgorithmE1EdEvPT3_S3_,@function
_Z16warp_load_kernelILj256ELj64ELj32ELN6hipcub17WarpLoadAlgorithmE1EdEvPT3_S3_: ; @_Z16warp_load_kernelILj256ELj64ELj32ELN6hipcub17WarpLoadAlgorithmE1EdEvPT3_S3_
; %bb.0:
	v_mbcnt_lo_u32_b32 v1, -1, 0
	v_mbcnt_hi_u32_b32 v1, -1, v1
	s_load_dwordx4 s[0:3], s[4:5], 0x0
	v_and_b32_e32 v5, 31, v1
	v_lshlrev_b32_e32 v1, 6, v0
	s_lshl_b32 s4, s6, 14
	v_and_b32_e32 v1, 0x3800, v1
	v_or_b32_e32 v1, s4, v1
	v_mov_b32_e32 v2, 0
	v_lshlrev_b64 v[3:4], 3, v[1:2]
	s_waitcnt lgkmcnt(0)
	v_mov_b32_e32 v1, s1
	v_add_co_u32_e32 v3, vcc, s0, v3
	v_addc_co_u32_e32 v1, vcc, v1, v4, vcc
	v_lshlrev_b32_e32 v4, 3, v5
	v_add_co_u32_e32 v3, vcc, v3, v4
	v_addc_co_u32_e32 v4, vcc, 0, v1, vcc
	global_load_dwordx2 v[43:44], v[3:4], off
	global_load_dwordx2 v[45:46], v[3:4], off offset:256
	global_load_dwordx2 v[47:48], v[3:4], off offset:512
	;; [unrolled: 1-line block ×3, first 2 shown]
	s_movk_i32 s0, 0x1000
	v_or_b32_e32 v1, s4, v0
	v_add_co_u32_e32 v5, vcc, s0, v3
	v_lshlrev_b64 v[7:8], 3, v[1:2]
	v_addc_co_u32_e32 v6, vcc, 0, v4, vcc
	v_mov_b32_e32 v0, s3
	v_add_co_u32_e32 v51, vcc, s2, v7
	s_movk_i32 s0, 0x2000
	v_addc_co_u32_e32 v52, vcc, v0, v8, vcc
	v_add_co_u32_e32 v7, vcc, s0, v3
	v_addc_co_u32_e32 v8, vcc, 0, v4, vcc
	s_movk_i32 s0, 0x3000
	v_add_co_u32_e32 v53, vcc, s0, v3
	v_addc_co_u32_e32 v54, vcc, 0, v4, vcc
	global_load_dwordx2 v[55:56], v[3:4], off offset:1024
	global_load_dwordx2 v[57:58], v[3:4], off offset:1280
	;; [unrolled: 1-line block ×12, first 2 shown]
	global_load_dwordx2 v[79:80], v[7:8], off
	global_load_dwordx2 v[81:82], v[7:8], off offset:256
	global_load_dwordx2 v[83:84], v[7:8], off offset:512
                                        ; kill: killed $vgpr3 killed $vgpr4
	global_load_dwordx2 v[85:86], v[7:8], off offset:768
	global_load_dwordx2 v[87:88], v[7:8], off offset:1024
	;; [unrolled: 1-line block ×28, first 2 shown]
	global_load_dwordx2 v[35:36], v[53:54], off
	global_load_dwordx2 v[31:32], v[53:54], off offset:256
                                        ; kill: killed $vgpr5 killed $vgpr6
	global_load_dwordx2 v[29:30], v[53:54], off offset:512
	global_load_dwordx2 v[27:28], v[53:54], off offset:768
	;; [unrolled: 1-line block ×11, first 2 shown]
	global_load_dwordx2 v[133:134], v[7:8], off offset:-4096
	s_nop 0
	global_load_dwordx2 v[7:8], v[53:54], off offset:3328
	global_load_dwordx2 v[5:6], v[53:54], off offset:3584
	;; [unrolled: 1-line block ×3, first 2 shown]
	s_waitcnt vmcnt(62)
	global_store_dwordx2 v[51:52], v[43:44], off
	global_store_dwordx2 v[51:52], v[45:46], off offset:2048
	v_or_b32_e32 v43, 0x200, v1
	v_mov_b32_e32 v44, v2
	v_lshlrev_b64 v[43:44], 3, v[43:44]
	v_add_co_u32_e32 v43, vcc, s2, v43
	v_addc_co_u32_e32 v44, vcc, v0, v44, vcc
	s_waitcnt vmcnt(62)
	global_store_dwordx2 v[43:44], v[47:48], off
	v_or_b32_e32 v43, 0x300, v1
	v_mov_b32_e32 v44, v2
	v_lshlrev_b64 v[43:44], 3, v[43:44]
	v_add_co_u32_e32 v43, vcc, s2, v43
	v_addc_co_u32_e32 v44, vcc, v0, v44, vcc
	global_store_dwordx2 v[43:44], v[49:50], off
	v_or_b32_e32 v43, 0x400, v1
	v_mov_b32_e32 v44, v2
	v_lshlrev_b64 v[43:44], 3, v[43:44]
	v_add_co_u32_e32 v43, vcc, s2, v43
	v_addc_co_u32_e32 v44, vcc, v0, v44, vcc
	s_waitcnt vmcnt(62)
	global_store_dwordx2 v[43:44], v[55:56], off
	v_or_b32_e32 v43, 0x500, v1
	v_mov_b32_e32 v44, v2
	v_lshlrev_b64 v[43:44], 3, v[43:44]
	v_add_co_u32_e32 v43, vcc, s2, v43
	v_addc_co_u32_e32 v44, vcc, v0, v44, vcc
	global_store_dwordx2 v[43:44], v[57:58], off
	;; [unrolled: 13-line block ×8, first 2 shown]
	v_or_b32_e32 v43, 0x1200, v1
	v_mov_b32_e32 v44, v2
	v_lshlrev_b64 v[43:44], 3, v[43:44]
	v_add_co_u32_e32 v43, vcc, s2, v43
	v_addc_co_u32_e32 v44, vcc, v0, v44, vcc
	global_store_dwordx2 v[43:44], v[105:106], off
	v_or_b32_e32 v43, 0x1300, v1
	v_mov_b32_e32 v44, v2
	v_lshlrev_b64 v[43:44], 3, v[43:44]
	v_add_co_u32_e32 v43, vcc, s2, v43
	v_addc_co_u32_e32 v44, vcc, v0, v44, vcc
	global_store_dwordx2 v[43:44], v[107:108], off
	;; [unrolled: 6-line block ×43, first 2 shown]
	v_or_b32_e32 v9, 0x3d00, v1
	v_mov_b32_e32 v10, v2
	v_lshlrev_b64 v[9:10], 3, v[9:10]
	v_add_co_u32_e32 v9, vcc, s2, v9
	v_addc_co_u32_e32 v10, vcc, v0, v10, vcc
	s_waitcnt vmcnt(62)
	global_store_dwordx2 v[9:10], v[7:8], off
	v_or_b32_e32 v7, 0x3e00, v1
	v_mov_b32_e32 v8, v2
	v_lshlrev_b64 v[7:8], 3, v[7:8]
	v_or_b32_e32 v1, 0x3f00, v1
	v_add_co_u32_e32 v7, vcc, s2, v7
	v_addc_co_u32_e32 v8, vcc, v0, v8, vcc
	v_lshlrev_b64 v[0:1], 3, v[1:2]
	v_mov_b32_e32 v2, s3
	v_add_co_u32_e32 v0, vcc, s2, v0
	v_addc_co_u32_e32 v1, vcc, v2, v1, vcc
	global_store_dwordx2 v[7:8], v[5:6], off
	s_waitcnt vmcnt(62)
	global_store_dwordx2 v[0:1], v[3:4], off
	s_endpgm
	.section	.rodata,"a",@progbits
	.p2align	6, 0x0
	.amdhsa_kernel _Z16warp_load_kernelILj256ELj64ELj32ELN6hipcub17WarpLoadAlgorithmE1EdEvPT3_S3_
		.amdhsa_group_segment_fixed_size 0
		.amdhsa_private_segment_fixed_size 0
		.amdhsa_kernarg_size 16
		.amdhsa_user_sgpr_count 6
		.amdhsa_user_sgpr_private_segment_buffer 1
		.amdhsa_user_sgpr_dispatch_ptr 0
		.amdhsa_user_sgpr_queue_ptr 0
		.amdhsa_user_sgpr_kernarg_segment_ptr 1
		.amdhsa_user_sgpr_dispatch_id 0
		.amdhsa_user_sgpr_flat_scratch_init 0
		.amdhsa_user_sgpr_private_segment_size 0
		.amdhsa_uses_dynamic_stack 0
		.amdhsa_system_sgpr_private_segment_wavefront_offset 0
		.amdhsa_system_sgpr_workgroup_id_x 1
		.amdhsa_system_sgpr_workgroup_id_y 0
		.amdhsa_system_sgpr_workgroup_id_z 0
		.amdhsa_system_sgpr_workgroup_info 0
		.amdhsa_system_vgpr_workitem_id 0
		.amdhsa_next_free_vgpr 135
		.amdhsa_next_free_sgpr 7
		.amdhsa_reserve_vcc 1
		.amdhsa_reserve_flat_scratch 0
		.amdhsa_float_round_mode_32 0
		.amdhsa_float_round_mode_16_64 0
		.amdhsa_float_denorm_mode_32 3
		.amdhsa_float_denorm_mode_16_64 3
		.amdhsa_dx10_clamp 1
		.amdhsa_ieee_mode 1
		.amdhsa_fp16_overflow 0
		.amdhsa_exception_fp_ieee_invalid_op 0
		.amdhsa_exception_fp_denorm_src 0
		.amdhsa_exception_fp_ieee_div_zero 0
		.amdhsa_exception_fp_ieee_overflow 0
		.amdhsa_exception_fp_ieee_underflow 0
		.amdhsa_exception_fp_ieee_inexact 0
		.amdhsa_exception_int_div_zero 0
	.end_amdhsa_kernel
	.section	.text._Z16warp_load_kernelILj256ELj64ELj32ELN6hipcub17WarpLoadAlgorithmE1EdEvPT3_S3_,"axG",@progbits,_Z16warp_load_kernelILj256ELj64ELj32ELN6hipcub17WarpLoadAlgorithmE1EdEvPT3_S3_,comdat
.Lfunc_end35:
	.size	_Z16warp_load_kernelILj256ELj64ELj32ELN6hipcub17WarpLoadAlgorithmE1EdEvPT3_S3_, .Lfunc_end35-_Z16warp_load_kernelILj256ELj64ELj32ELN6hipcub17WarpLoadAlgorithmE1EdEvPT3_S3_
                                        ; -- End function
	.set _Z16warp_load_kernelILj256ELj64ELj32ELN6hipcub17WarpLoadAlgorithmE1EdEvPT3_S3_.num_vgpr, 135
	.set _Z16warp_load_kernelILj256ELj64ELj32ELN6hipcub17WarpLoadAlgorithmE1EdEvPT3_S3_.num_agpr, 0
	.set _Z16warp_load_kernelILj256ELj64ELj32ELN6hipcub17WarpLoadAlgorithmE1EdEvPT3_S3_.numbered_sgpr, 7
	.set _Z16warp_load_kernelILj256ELj64ELj32ELN6hipcub17WarpLoadAlgorithmE1EdEvPT3_S3_.num_named_barrier, 0
	.set _Z16warp_load_kernelILj256ELj64ELj32ELN6hipcub17WarpLoadAlgorithmE1EdEvPT3_S3_.private_seg_size, 0
	.set _Z16warp_load_kernelILj256ELj64ELj32ELN6hipcub17WarpLoadAlgorithmE1EdEvPT3_S3_.uses_vcc, 1
	.set _Z16warp_load_kernelILj256ELj64ELj32ELN6hipcub17WarpLoadAlgorithmE1EdEvPT3_S3_.uses_flat_scratch, 0
	.set _Z16warp_load_kernelILj256ELj64ELj32ELN6hipcub17WarpLoadAlgorithmE1EdEvPT3_S3_.has_dyn_sized_stack, 0
	.set _Z16warp_load_kernelILj256ELj64ELj32ELN6hipcub17WarpLoadAlgorithmE1EdEvPT3_S3_.has_recursion, 0
	.set _Z16warp_load_kernelILj256ELj64ELj32ELN6hipcub17WarpLoadAlgorithmE1EdEvPT3_S3_.has_indirect_call, 0
	.section	.AMDGPU.csdata,"",@progbits
; Kernel info:
; codeLenInByte = 2960
; TotalNumSgprs: 11
; NumVgprs: 135
; ScratchSize: 0
; MemoryBound: 1
; FloatMode: 240
; IeeeMode: 1
; LDSByteSize: 0 bytes/workgroup (compile time only)
; SGPRBlocks: 1
; VGPRBlocks: 33
; NumSGPRsForWavesPerEU: 11
; NumVGPRsForWavesPerEU: 135
; Occupancy: 1
; WaveLimiterHint : 1
; COMPUTE_PGM_RSRC2:SCRATCH_EN: 0
; COMPUTE_PGM_RSRC2:USER_SGPR: 6
; COMPUTE_PGM_RSRC2:TRAP_HANDLER: 0
; COMPUTE_PGM_RSRC2:TGID_X_EN: 1
; COMPUTE_PGM_RSRC2:TGID_Y_EN: 0
; COMPUTE_PGM_RSRC2:TGID_Z_EN: 0
; COMPUTE_PGM_RSRC2:TIDIG_COMP_CNT: 0
	.section	.text._Z16warp_load_kernelILj256ELj64ELj32ELN6hipcub17WarpLoadAlgorithmE2EdEvPT3_S3_,"axG",@progbits,_Z16warp_load_kernelILj256ELj64ELj32ELN6hipcub17WarpLoadAlgorithmE2EdEvPT3_S3_,comdat
	.protected	_Z16warp_load_kernelILj256ELj64ELj32ELN6hipcub17WarpLoadAlgorithmE2EdEvPT3_S3_ ; -- Begin function _Z16warp_load_kernelILj256ELj64ELj32ELN6hipcub17WarpLoadAlgorithmE2EdEvPT3_S3_
	.globl	_Z16warp_load_kernelILj256ELj64ELj32ELN6hipcub17WarpLoadAlgorithmE2EdEvPT3_S3_
	.p2align	8
	.type	_Z16warp_load_kernelILj256ELj64ELj32ELN6hipcub17WarpLoadAlgorithmE2EdEvPT3_S3_,@function
_Z16warp_load_kernelILj256ELj64ELj32ELN6hipcub17WarpLoadAlgorithmE2EdEvPT3_S3_: ; @_Z16warp_load_kernelILj256ELj64ELj32ELN6hipcub17WarpLoadAlgorithmE2EdEvPT3_S3_
; %bb.0:
	v_mbcnt_lo_u32_b32 v1, -1, 0
	s_load_dwordx4 s[0:3], s[4:5], 0x0
	v_mbcnt_hi_u32_b32 v3, -1, v1
	v_lshlrev_b32_e32 v1, 6, v0
	s_lshl_b32 s4, s6, 14
	v_and_b32_e32 v1, 0x3800, v1
	v_or_b32_e32 v36, s4, v1
	v_mov_b32_e32 v37, 0
	v_lshlrev_b64 v[1:2], 3, v[36:37]
	s_waitcnt lgkmcnt(0)
	v_mov_b32_e32 v4, s1
	v_add_co_u32_e32 v1, vcc, s0, v1
	v_lshlrev_b32_e32 v3, 9, v3
	v_addc_co_u32_e32 v2, vcc, v4, v2, vcc
	v_and_b32_e32 v3, 0x3e00, v3
	v_add_co_u32_e32 v12, vcc, v1, v3
	v_addc_co_u32_e32 v13, vcc, 0, v2, vcc
	global_load_dwordx4 v[38:41], v[12:13], off
	global_load_dwordx4 v[42:45], v[12:13], off offset:16
	global_load_dwordx4 v[46:49], v[12:13], off offset:32
	;; [unrolled: 1-line block ×5, first 2 shown]
	v_or_b32_e32 v36, s4, v0
	v_lshlrev_b64 v[6:7], 3, v[36:37]
	v_mov_b32_e32 v1, v37
	v_or_b32_e32 v0, 0x200, v36
	v_mov_b32_e32 v8, s3
	v_lshlrev_b64 v[0:1], 3, v[0:1]
	v_add_co_u32_e32 v130, vcc, s2, v6
	v_mov_b32_e32 v3, v37
	v_or_b32_e32 v2, 0x300, v36
	v_addc_co_u32_e32 v131, vcc, v8, v7, vcc
	v_mov_b32_e32 v9, s3
	v_lshlrev_b64 v[2:3], 3, v[2:3]
	v_add_co_u32_e32 v132, vcc, s2, v0
	v_mov_b32_e32 v5, v37
	v_or_b32_e32 v4, 0x400, v36
	v_addc_co_u32_e32 v133, vcc, v9, v1, vcc
	v_mov_b32_e32 v10, s3
	v_lshlrev_b64 v[4:5], 3, v[4:5]
	v_add_co_u32_e32 v134, vcc, s2, v2
	v_addc_co_u32_e32 v135, vcc, v10, v3, vcc
	v_mov_b32_e32 v11, s3
	v_add_co_u32_e32 v136, vcc, s2, v4
	v_addc_co_u32_e32 v137, vcc, v11, v5, vcc
	global_load_dwordx4 v[62:65], v[12:13], off offset:112
	global_load_dwordx4 v[66:69], v[12:13], off offset:96
	;; [unrolled: 1-line block ×25, first 2 shown]
	s_nop 0
	global_load_dwordx4 v[12:15], v[12:13], off offset:448
	s_waitcnt vmcnt(31)
	global_store_dwordx2 v[130:131], v[38:39], off
	global_store_dwordx2 v[130:131], v[40:41], off offset:2048
	s_waitcnt vmcnt(32)
	global_store_dwordx2 v[132:133], v[42:43], off
	global_store_dwordx2 v[134:135], v[44:45], off
	v_or_b32_e32 v38, 0x500, v36
	v_mov_b32_e32 v39, v37
	v_lshlrev_b64 v[38:39], 3, v[38:39]
	v_mov_b32_e32 v40, s3
	v_add_co_u32_e32 v38, vcc, s2, v38
	v_addc_co_u32_e32 v39, vcc, v40, v39, vcc
	s_waitcnt vmcnt(33)
	global_store_dwordx2 v[136:137], v[46:47], off
	global_store_dwordx2 v[38:39], v[48:49], off
	v_or_b32_e32 v38, 0x600, v36
	v_mov_b32_e32 v39, v37
	v_lshlrev_b64 v[38:39], 3, v[38:39]
	v_mov_b32_e32 v41, v37
	v_add_co_u32_e32 v38, vcc, s2, v38
	v_addc_co_u32_e32 v39, vcc, v40, v39, vcc
	v_or_b32_e32 v40, 0x700, v36
	v_lshlrev_b64 v[40:41], 3, v[40:41]
	v_mov_b32_e32 v42, s3
	v_add_co_u32_e32 v40, vcc, s2, v40
	v_addc_co_u32_e32 v41, vcc, v42, v41, vcc
	s_waitcnt vmcnt(34)
	global_store_dwordx2 v[38:39], v[50:51], off
	global_store_dwordx2 v[40:41], v[52:53], off
	v_or_b32_e32 v38, 0x800, v36
	v_mov_b32_e32 v39, v37
	v_lshlrev_b64 v[38:39], 3, v[38:39]
	v_mov_b32_e32 v40, s3
	v_add_co_u32_e32 v38, vcc, s2, v38
	v_addc_co_u32_e32 v39, vcc, v40, v39, vcc
	v_or_b32_e32 v40, 0x900, v36
	v_mov_b32_e32 v41, v37
	v_lshlrev_b64 v[40:41], 3, v[40:41]
	v_add_co_u32_e32 v40, vcc, s2, v40
	v_addc_co_u32_e32 v41, vcc, v42, v41, vcc
	s_waitcnt vmcnt(34)
	global_store_dwordx2 v[38:39], v[58:59], off
	global_store_dwordx2 v[40:41], v[60:61], off
	v_or_b32_e32 v38, 0xa00, v36
	v_mov_b32_e32 v39, v37
	v_lshlrev_b64 v[38:39], 3, v[38:39]
	v_mov_b32_e32 v40, s3
	v_add_co_u32_e32 v38, vcc, s2, v38
	v_addc_co_u32_e32 v39, vcc, v40, v39, vcc
	v_or_b32_e32 v40, 0xb00, v36
	v_mov_b32_e32 v41, v37
	v_lshlrev_b64 v[40:41], 3, v[40:41]
	v_add_co_u32_e32 v40, vcc, s2, v40
	v_addc_co_u32_e32 v41, vcc, v42, v41, vcc
	global_store_dwordx2 v[38:39], v[54:55], off
	global_store_dwordx2 v[40:41], v[56:57], off
	v_or_b32_e32 v38, 0xc00, v36
	v_mov_b32_e32 v39, v37
	v_lshlrev_b64 v[38:39], 3, v[38:39]
	v_mov_b32_e32 v40, s3
	v_add_co_u32_e32 v38, vcc, s2, v38
	v_addc_co_u32_e32 v39, vcc, v40, v39, vcc
	v_or_b32_e32 v40, 0xd00, v36
	v_mov_b32_e32 v41, v37
	v_lshlrev_b64 v[40:41], 3, v[40:41]
	v_add_co_u32_e32 v40, vcc, s2, v40
	v_addc_co_u32_e32 v41, vcc, v42, v41, vcc
	s_waitcnt vmcnt(36)
	global_store_dwordx2 v[38:39], v[66:67], off
	global_store_dwordx2 v[40:41], v[68:69], off
	v_or_b32_e32 v38, 0xe00, v36
	v_mov_b32_e32 v39, v37
	v_lshlrev_b64 v[38:39], 3, v[38:39]
	v_mov_b32_e32 v40, s3
	v_add_co_u32_e32 v38, vcc, s2, v38
	v_addc_co_u32_e32 v39, vcc, v40, v39, vcc
	v_or_b32_e32 v40, 0xf00, v36
	v_mov_b32_e32 v41, v37
	v_lshlrev_b64 v[40:41], 3, v[40:41]
	v_add_co_u32_e32 v40, vcc, s2, v40
	v_addc_co_u32_e32 v41, vcc, v42, v41, vcc
	;; [unrolled: 27-line block ×3, first 2 shown]
	global_store_dwordx2 v[38:39], v[78:79], off
	global_store_dwordx2 v[40:41], v[80:81], off
	v_or_b32_e32 v38, 0x1400, v36
	v_mov_b32_e32 v39, v37
	v_lshlrev_b64 v[38:39], 3, v[38:39]
	v_mov_b32_e32 v40, s3
	v_add_co_u32_e32 v38, vcc, s2, v38
	v_addc_co_u32_e32 v39, vcc, v40, v39, vcc
	v_or_b32_e32 v40, 0x1500, v36
	v_mov_b32_e32 v41, v37
	v_lshlrev_b64 v[40:41], 3, v[40:41]
	v_add_co_u32_e32 v40, vcc, s2, v40
	v_addc_co_u32_e32 v41, vcc, v42, v41, vcc
	global_store_dwordx2 v[38:39], v[74:75], off
	global_store_dwordx2 v[40:41], v[76:77], off
	v_or_b32_e32 v38, 0x1600, v36
	v_mov_b32_e32 v39, v37
	v_lshlrev_b64 v[38:39], 3, v[38:39]
	v_mov_b32_e32 v40, s3
	v_add_co_u32_e32 v38, vcc, s2, v38
	v_addc_co_u32_e32 v39, vcc, v40, v39, vcc
	v_or_b32_e32 v40, 0x1700, v36
	v_mov_b32_e32 v41, v37
	v_lshlrev_b64 v[40:41], 3, v[40:41]
	v_add_co_u32_e32 v40, vcc, s2, v40
	v_addc_co_u32_e32 v41, vcc, v42, v41, vcc
	global_store_dwordx2 v[38:39], v[70:71], off
	global_store_dwordx2 v[40:41], v[72:73], off
	v_or_b32_e32 v38, 0x1800, v36
	v_mov_b32_e32 v39, v37
	v_lshlrev_b64 v[38:39], 3, v[38:39]
	v_mov_b32_e32 v40, s3
	v_add_co_u32_e32 v38, vcc, s2, v38
	v_addc_co_u32_e32 v39, vcc, v40, v39, vcc
	v_or_b32_e32 v40, 0x1900, v36
	v_mov_b32_e32 v41, v37
	v_lshlrev_b64 v[40:41], 3, v[40:41]
	v_add_co_u32_e32 v40, vcc, s2, v40
	v_addc_co_u32_e32 v41, vcc, v42, v41, vcc
	s_waitcnt vmcnt(40)
	global_store_dwordx2 v[38:39], v[98:99], off
	global_store_dwordx2 v[40:41], v[100:101], off
	v_or_b32_e32 v38, 0x1a00, v36
	v_mov_b32_e32 v39, v37
	v_lshlrev_b64 v[38:39], 3, v[38:39]
	v_mov_b32_e32 v40, s3
	v_add_co_u32_e32 v38, vcc, s2, v38
	v_addc_co_u32_e32 v39, vcc, v40, v39, vcc
	v_or_b32_e32 v40, 0x1b00, v36
	v_mov_b32_e32 v41, v37
	v_lshlrev_b64 v[40:41], 3, v[40:41]
	v_add_co_u32_e32 v40, vcc, s2, v40
	v_addc_co_u32_e32 v41, vcc, v42, v41, vcc
	global_store_dwordx2 v[38:39], v[94:95], off
	global_store_dwordx2 v[40:41], v[96:97], off
	v_or_b32_e32 v38, 0x1c00, v36
	v_mov_b32_e32 v39, v37
	v_lshlrev_b64 v[38:39], 3, v[38:39]
	v_mov_b32_e32 v40, s3
	v_add_co_u32_e32 v38, vcc, s2, v38
	v_addc_co_u32_e32 v39, vcc, v40, v39, vcc
	v_or_b32_e32 v40, 0x1d00, v36
	v_mov_b32_e32 v41, v37
	v_lshlrev_b64 v[40:41], 3, v[40:41]
	v_add_co_u32_e32 v40, vcc, s2, v40
	v_addc_co_u32_e32 v41, vcc, v42, v41, vcc
	global_store_dwordx2 v[38:39], v[90:91], off
	global_store_dwordx2 v[40:41], v[92:93], off
	v_or_b32_e32 v38, 0x1e00, v36
	v_mov_b32_e32 v39, v37
	v_lshlrev_b64 v[38:39], 3, v[38:39]
	v_mov_b32_e32 v40, s3
	v_add_co_u32_e32 v38, vcc, s2, v38
	v_addc_co_u32_e32 v39, vcc, v40, v39, vcc
	v_or_b32_e32 v40, 0x1f00, v36
	v_mov_b32_e32 v41, v37
	v_lshlrev_b64 v[40:41], 3, v[40:41]
	v_add_co_u32_e32 v40, vcc, s2, v40
	v_addc_co_u32_e32 v41, vcc, v42, v41, vcc
	global_store_dwordx2 v[38:39], v[86:87], off
	global_store_dwordx2 v[40:41], v[88:89], off
	v_or_b32_e32 v38, 0x2000, v36
	v_mov_b32_e32 v39, v37
	v_lshlrev_b64 v[38:39], 3, v[38:39]
	v_mov_b32_e32 v40, s3
	v_add_co_u32_e32 v38, vcc, s2, v38
	v_addc_co_u32_e32 v39, vcc, v40, v39, vcc
	v_or_b32_e32 v40, 0x2100, v36
	v_mov_b32_e32 v41, v37
	v_lshlrev_b64 v[40:41], 3, v[40:41]
	v_add_co_u32_e32 v40, vcc, s2, v40
	v_addc_co_u32_e32 v41, vcc, v42, v41, vcc
	s_waitcnt vmcnt(44)
	global_store_dwordx2 v[38:39], v[114:115], off
	global_store_dwordx2 v[40:41], v[116:117], off
	v_or_b32_e32 v38, 0x2200, v36
	v_mov_b32_e32 v39, v37
	v_lshlrev_b64 v[38:39], 3, v[38:39]
	v_mov_b32_e32 v40, s3
	v_add_co_u32_e32 v38, vcc, s2, v38
	v_addc_co_u32_e32 v39, vcc, v40, v39, vcc
	v_or_b32_e32 v40, 0x2300, v36
	v_mov_b32_e32 v41, v37
	v_lshlrev_b64 v[40:41], 3, v[40:41]
	v_add_co_u32_e32 v40, vcc, s2, v40
	v_addc_co_u32_e32 v41, vcc, v42, v41, vcc
	;; [unrolled: 53-line block ×3, first 2 shown]
	global_store_dwordx2 v[38:39], v[122:123], off
	global_store_dwordx2 v[40:41], v[124:125], off
	v_or_b32_e32 v38, 0x2c00, v36
	v_mov_b32_e32 v39, v37
	v_lshlrev_b64 v[38:39], 3, v[38:39]
	v_mov_b32_e32 v40, s3
	v_add_co_u32_e32 v38, vcc, s2, v38
	v_addc_co_u32_e32 v39, vcc, v40, v39, vcc
	v_or_b32_e32 v40, 0x2d00, v36
	v_mov_b32_e32 v41, v37
	v_lshlrev_b64 v[40:41], 3, v[40:41]
	v_add_co_u32_e32 v40, vcc, s2, v40
	v_addc_co_u32_e32 v41, vcc, v42, v41, vcc
	global_store_dwordx2 v[38:39], v[118:119], off
	global_store_dwordx2 v[40:41], v[120:121], off
	v_or_b32_e32 v38, 0x2e00, v36
	v_mov_b32_e32 v39, v37
	v_lshlrev_b64 v[38:39], 3, v[38:39]
	v_mov_b32_e32 v40, s3
	v_add_co_u32_e32 v38, vcc, s2, v38
	v_addc_co_u32_e32 v39, vcc, v40, v39, vcc
	v_or_b32_e32 v40, 0x2f00, v36
	v_mov_b32_e32 v41, v37
	v_lshlrev_b64 v[40:41], 3, v[40:41]
	v_add_co_u32_e32 v40, vcc, s2, v40
	v_addc_co_u32_e32 v41, vcc, v42, v41, vcc
	global_store_dwordx2 v[38:39], v[32:33], off
	global_store_dwordx2 v[40:41], v[34:35], off
	v_or_b32_e32 v32, 0x3000, v36
	v_mov_b32_e32 v33, v37
	v_lshlrev_b64 v[32:33], 3, v[32:33]
	v_mov_b32_e32 v34, s3
	v_add_co_u32_e32 v32, vcc, s2, v32
	v_addc_co_u32_e32 v33, vcc, v34, v33, vcc
	v_or_b32_e32 v34, 0x3100, v36
	v_mov_b32_e32 v35, v37
	v_lshlrev_b64 v[34:35], 3, v[34:35]
	v_mov_b32_e32 v38, s3
	v_add_co_u32_e32 v34, vcc, s2, v34
	v_addc_co_u32_e32 v35, vcc, v38, v35, vcc
	s_waitcnt vmcnt(52)
	global_store_dwordx2 v[32:33], v[28:29], off
	global_store_dwordx2 v[34:35], v[30:31], off
	v_or_b32_e32 v28, 0x3200, v36
	v_mov_b32_e32 v29, v37
	v_lshlrev_b64 v[28:29], 3, v[28:29]
	v_mov_b32_e32 v30, s3
	v_add_co_u32_e32 v28, vcc, s2, v28
	v_addc_co_u32_e32 v29, vcc, v30, v29, vcc
	v_or_b32_e32 v30, 0x3300, v36
	v_mov_b32_e32 v31, v37
	v_lshlrev_b64 v[30:31], 3, v[30:31]
	v_mov_b32_e32 v32, s3
	v_add_co_u32_e32 v30, vcc, s2, v30
	v_addc_co_u32_e32 v31, vcc, v32, v31, vcc
	global_store_dwordx2 v[28:29], v[24:25], off
	global_store_dwordx2 v[30:31], v[26:27], off
	v_or_b32_e32 v24, 0x3400, v36
	v_mov_b32_e32 v25, v37
	v_lshlrev_b64 v[24:25], 3, v[24:25]
	v_mov_b32_e32 v26, s3
	v_add_co_u32_e32 v24, vcc, s2, v24
	v_addc_co_u32_e32 v25, vcc, v26, v25, vcc
	v_or_b32_e32 v26, 0x3500, v36
	v_mov_b32_e32 v27, v37
	v_lshlrev_b64 v[26:27], 3, v[26:27]
	v_mov_b32_e32 v28, s3
	v_add_co_u32_e32 v26, vcc, s2, v26
	v_addc_co_u32_e32 v27, vcc, v28, v27, vcc
	;; [unrolled: 14-line block ×4, first 2 shown]
	s_waitcnt vmcnt(56)
	global_store_dwordx2 v[16:17], v[12:13], off
	global_store_dwordx2 v[18:19], v[14:15], off
	v_or_b32_e32 v12, 0x3a00, v36
	v_mov_b32_e32 v13, v37
	v_lshlrev_b64 v[12:13], 3, v[12:13]
	v_mov_b32_e32 v14, s3
	v_add_co_u32_e32 v12, vcc, s2, v12
	v_addc_co_u32_e32 v13, vcc, v14, v13, vcc
	global_store_dwordx2 v[12:13], v[8:9], off
	v_or_b32_e32 v8, 0x3b00, v36
	v_mov_b32_e32 v9, v37
	v_lshlrev_b64 v[8:9], 3, v[8:9]
	v_mov_b32_e32 v12, s3
	v_add_co_u32_e32 v8, vcc, s2, v8
	v_addc_co_u32_e32 v9, vcc, v12, v9, vcc
	;; [unrolled: 7-line block ×5, first 2 shown]
	v_or_b32_e32 v36, 0x3f00, v36
	global_store_dwordx2 v[4:5], v[0:1], off
	v_lshlrev_b64 v[0:1], 3, v[36:37]
	v_mov_b32_e32 v4, s3
	v_add_co_u32_e32 v0, vcc, s2, v0
	v_addc_co_u32_e32 v1, vcc, v4, v1, vcc
	global_store_dwordx2 v[0:1], v[2:3], off
	s_endpgm
	.section	.rodata,"a",@progbits
	.p2align	6, 0x0
	.amdhsa_kernel _Z16warp_load_kernelILj256ELj64ELj32ELN6hipcub17WarpLoadAlgorithmE2EdEvPT3_S3_
		.amdhsa_group_segment_fixed_size 0
		.amdhsa_private_segment_fixed_size 0
		.amdhsa_kernarg_size 16
		.amdhsa_user_sgpr_count 6
		.amdhsa_user_sgpr_private_segment_buffer 1
		.amdhsa_user_sgpr_dispatch_ptr 0
		.amdhsa_user_sgpr_queue_ptr 0
		.amdhsa_user_sgpr_kernarg_segment_ptr 1
		.amdhsa_user_sgpr_dispatch_id 0
		.amdhsa_user_sgpr_flat_scratch_init 0
		.amdhsa_user_sgpr_private_segment_size 0
		.amdhsa_uses_dynamic_stack 0
		.amdhsa_system_sgpr_private_segment_wavefront_offset 0
		.amdhsa_system_sgpr_workgroup_id_x 1
		.amdhsa_system_sgpr_workgroup_id_y 0
		.amdhsa_system_sgpr_workgroup_id_z 0
		.amdhsa_system_sgpr_workgroup_info 0
		.amdhsa_system_vgpr_workitem_id 0
		.amdhsa_next_free_vgpr 138
		.amdhsa_next_free_sgpr 7
		.amdhsa_reserve_vcc 1
		.amdhsa_reserve_flat_scratch 0
		.amdhsa_float_round_mode_32 0
		.amdhsa_float_round_mode_16_64 0
		.amdhsa_float_denorm_mode_32 3
		.amdhsa_float_denorm_mode_16_64 3
		.amdhsa_dx10_clamp 1
		.amdhsa_ieee_mode 1
		.amdhsa_fp16_overflow 0
		.amdhsa_exception_fp_ieee_invalid_op 0
		.amdhsa_exception_fp_denorm_src 0
		.amdhsa_exception_fp_ieee_div_zero 0
		.amdhsa_exception_fp_ieee_overflow 0
		.amdhsa_exception_fp_ieee_underflow 0
		.amdhsa_exception_fp_ieee_inexact 0
		.amdhsa_exception_int_div_zero 0
	.end_amdhsa_kernel
	.section	.text._Z16warp_load_kernelILj256ELj64ELj32ELN6hipcub17WarpLoadAlgorithmE2EdEvPT3_S3_,"axG",@progbits,_Z16warp_load_kernelILj256ELj64ELj32ELN6hipcub17WarpLoadAlgorithmE2EdEvPT3_S3_,comdat
.Lfunc_end36:
	.size	_Z16warp_load_kernelILj256ELj64ELj32ELN6hipcub17WarpLoadAlgorithmE2EdEvPT3_S3_, .Lfunc_end36-_Z16warp_load_kernelILj256ELj64ELj32ELN6hipcub17WarpLoadAlgorithmE2EdEvPT3_S3_
                                        ; -- End function
	.set _Z16warp_load_kernelILj256ELj64ELj32ELN6hipcub17WarpLoadAlgorithmE2EdEvPT3_S3_.num_vgpr, 138
	.set _Z16warp_load_kernelILj256ELj64ELj32ELN6hipcub17WarpLoadAlgorithmE2EdEvPT3_S3_.num_agpr, 0
	.set _Z16warp_load_kernelILj256ELj64ELj32ELN6hipcub17WarpLoadAlgorithmE2EdEvPT3_S3_.numbered_sgpr, 7
	.set _Z16warp_load_kernelILj256ELj64ELj32ELN6hipcub17WarpLoadAlgorithmE2EdEvPT3_S3_.num_named_barrier, 0
	.set _Z16warp_load_kernelILj256ELj64ELj32ELN6hipcub17WarpLoadAlgorithmE2EdEvPT3_S3_.private_seg_size, 0
	.set _Z16warp_load_kernelILj256ELj64ELj32ELN6hipcub17WarpLoadAlgorithmE2EdEvPT3_S3_.uses_vcc, 1
	.set _Z16warp_load_kernelILj256ELj64ELj32ELN6hipcub17WarpLoadAlgorithmE2EdEvPT3_S3_.uses_flat_scratch, 0
	.set _Z16warp_load_kernelILj256ELj64ELj32ELN6hipcub17WarpLoadAlgorithmE2EdEvPT3_S3_.has_dyn_sized_stack, 0
	.set _Z16warp_load_kernelILj256ELj64ELj32ELN6hipcub17WarpLoadAlgorithmE2EdEvPT3_S3_.has_recursion, 0
	.set _Z16warp_load_kernelILj256ELj64ELj32ELN6hipcub17WarpLoadAlgorithmE2EdEvPT3_S3_.has_indirect_call, 0
	.section	.AMDGPU.csdata,"",@progbits
; Kernel info:
; codeLenInByte = 2836
; TotalNumSgprs: 11
; NumVgprs: 138
; ScratchSize: 0
; MemoryBound: 1
; FloatMode: 240
; IeeeMode: 1
; LDSByteSize: 0 bytes/workgroup (compile time only)
; SGPRBlocks: 1
; VGPRBlocks: 34
; NumSGPRsForWavesPerEU: 11
; NumVGPRsForWavesPerEU: 138
; Occupancy: 1
; WaveLimiterHint : 1
; COMPUTE_PGM_RSRC2:SCRATCH_EN: 0
; COMPUTE_PGM_RSRC2:USER_SGPR: 6
; COMPUTE_PGM_RSRC2:TRAP_HANDLER: 0
; COMPUTE_PGM_RSRC2:TGID_X_EN: 1
; COMPUTE_PGM_RSRC2:TGID_Y_EN: 0
; COMPUTE_PGM_RSRC2:TGID_Z_EN: 0
; COMPUTE_PGM_RSRC2:TIDIG_COMP_CNT: 0
	.section	.text._Z16warp_load_kernelILj256ELj4ELj64ELN6hipcub17WarpLoadAlgorithmE0EiEvPT3_S3_,"axG",@progbits,_Z16warp_load_kernelILj256ELj4ELj64ELN6hipcub17WarpLoadAlgorithmE0EiEvPT3_S3_,comdat
	.protected	_Z16warp_load_kernelILj256ELj4ELj64ELN6hipcub17WarpLoadAlgorithmE0EiEvPT3_S3_ ; -- Begin function _Z16warp_load_kernelILj256ELj4ELj64ELN6hipcub17WarpLoadAlgorithmE0EiEvPT3_S3_
	.globl	_Z16warp_load_kernelILj256ELj4ELj64ELN6hipcub17WarpLoadAlgorithmE0EiEvPT3_S3_
	.p2align	8
	.type	_Z16warp_load_kernelILj256ELj4ELj64ELN6hipcub17WarpLoadAlgorithmE0EiEvPT3_S3_,@function
_Z16warp_load_kernelILj256ELj4ELj64ELN6hipcub17WarpLoadAlgorithmE0EiEvPT3_S3_: ; @_Z16warp_load_kernelILj256ELj4ELj64ELN6hipcub17WarpLoadAlgorithmE0EiEvPT3_S3_
; %bb.0:
	v_mbcnt_lo_u32_b32 v1, -1, 0
	s_load_dwordx4 s[0:3], s[4:5], 0x0
	v_mbcnt_hi_u32_b32 v3, -1, v1
	v_lshlrev_b32_e32 v1, 2, v0
	s_lshl_b32 s4, s6, 10
	v_and_b32_e32 v1, 0x300, v1
	v_or_b32_e32 v5, s4, v1
	v_mov_b32_e32 v6, 0
	v_lshlrev_b64 v[1:2], 2, v[5:6]
	s_waitcnt lgkmcnt(0)
	v_mov_b32_e32 v4, s1
	v_add_co_u32_e32 v1, vcc, s0, v1
	v_addc_co_u32_e32 v2, vcc, v4, v2, vcc
	v_lshlrev_b32_e32 v3, 4, v3
	v_add_co_u32_e32 v1, vcc, v1, v3
	v_addc_co_u32_e32 v2, vcc, 0, v2, vcc
	global_load_dwordx4 v[1:4], v[1:2], off
	v_or_b32_e32 v5, s4, v0
	v_lshlrev_b64 v[11:12], 2, v[5:6]
	v_mov_b32_e32 v8, v6
	v_or_b32_e32 v7, 0x100, v5
	v_mov_b32_e32 v0, s3
	v_lshlrev_b64 v[7:8], 2, v[7:8]
	v_add_co_u32_e32 v11, vcc, s2, v11
	v_mov_b32_e32 v10, v6
	v_or_b32_e32 v9, 0x200, v5
	v_addc_co_u32_e32 v12, vcc, v0, v12, vcc
	v_mov_b32_e32 v13, s3
	v_lshlrev_b64 v[9:10], 2, v[9:10]
	v_add_co_u32_e32 v7, vcc, s2, v7
	v_or_b32_e32 v5, 0x300, v5
	v_addc_co_u32_e32 v8, vcc, v13, v8, vcc
	v_mov_b32_e32 v14, s3
	v_lshlrev_b64 v[5:6], 2, v[5:6]
	v_add_co_u32_e32 v9, vcc, s2, v9
	v_addc_co_u32_e32 v10, vcc, v14, v10, vcc
	v_mov_b32_e32 v15, s3
	v_add_co_u32_e32 v5, vcc, s2, v5
	v_addc_co_u32_e32 v6, vcc, v15, v6, vcc
	s_waitcnt vmcnt(0)
	global_store_dword v[11:12], v1, off
	global_store_dword v[7:8], v2, off
	;; [unrolled: 1-line block ×4, first 2 shown]
	s_endpgm
	.section	.rodata,"a",@progbits
	.p2align	6, 0x0
	.amdhsa_kernel _Z16warp_load_kernelILj256ELj4ELj64ELN6hipcub17WarpLoadAlgorithmE0EiEvPT3_S3_
		.amdhsa_group_segment_fixed_size 0
		.amdhsa_private_segment_fixed_size 0
		.amdhsa_kernarg_size 16
		.amdhsa_user_sgpr_count 6
		.amdhsa_user_sgpr_private_segment_buffer 1
		.amdhsa_user_sgpr_dispatch_ptr 0
		.amdhsa_user_sgpr_queue_ptr 0
		.amdhsa_user_sgpr_kernarg_segment_ptr 1
		.amdhsa_user_sgpr_dispatch_id 0
		.amdhsa_user_sgpr_flat_scratch_init 0
		.amdhsa_user_sgpr_private_segment_size 0
		.amdhsa_uses_dynamic_stack 0
		.amdhsa_system_sgpr_private_segment_wavefront_offset 0
		.amdhsa_system_sgpr_workgroup_id_x 1
		.amdhsa_system_sgpr_workgroup_id_y 0
		.amdhsa_system_sgpr_workgroup_id_z 0
		.amdhsa_system_sgpr_workgroup_info 0
		.amdhsa_system_vgpr_workitem_id 0
		.amdhsa_next_free_vgpr 16
		.amdhsa_next_free_sgpr 7
		.amdhsa_reserve_vcc 1
		.amdhsa_reserve_flat_scratch 0
		.amdhsa_float_round_mode_32 0
		.amdhsa_float_round_mode_16_64 0
		.amdhsa_float_denorm_mode_32 3
		.amdhsa_float_denorm_mode_16_64 3
		.amdhsa_dx10_clamp 1
		.amdhsa_ieee_mode 1
		.amdhsa_fp16_overflow 0
		.amdhsa_exception_fp_ieee_invalid_op 0
		.amdhsa_exception_fp_denorm_src 0
		.amdhsa_exception_fp_ieee_div_zero 0
		.amdhsa_exception_fp_ieee_overflow 0
		.amdhsa_exception_fp_ieee_underflow 0
		.amdhsa_exception_fp_ieee_inexact 0
		.amdhsa_exception_int_div_zero 0
	.end_amdhsa_kernel
	.section	.text._Z16warp_load_kernelILj256ELj4ELj64ELN6hipcub17WarpLoadAlgorithmE0EiEvPT3_S3_,"axG",@progbits,_Z16warp_load_kernelILj256ELj4ELj64ELN6hipcub17WarpLoadAlgorithmE0EiEvPT3_S3_,comdat
.Lfunc_end37:
	.size	_Z16warp_load_kernelILj256ELj4ELj64ELN6hipcub17WarpLoadAlgorithmE0EiEvPT3_S3_, .Lfunc_end37-_Z16warp_load_kernelILj256ELj4ELj64ELN6hipcub17WarpLoadAlgorithmE0EiEvPT3_S3_
                                        ; -- End function
	.set _Z16warp_load_kernelILj256ELj4ELj64ELN6hipcub17WarpLoadAlgorithmE0EiEvPT3_S3_.num_vgpr, 16
	.set _Z16warp_load_kernelILj256ELj4ELj64ELN6hipcub17WarpLoadAlgorithmE0EiEvPT3_S3_.num_agpr, 0
	.set _Z16warp_load_kernelILj256ELj4ELj64ELN6hipcub17WarpLoadAlgorithmE0EiEvPT3_S3_.numbered_sgpr, 7
	.set _Z16warp_load_kernelILj256ELj4ELj64ELN6hipcub17WarpLoadAlgorithmE0EiEvPT3_S3_.num_named_barrier, 0
	.set _Z16warp_load_kernelILj256ELj4ELj64ELN6hipcub17WarpLoadAlgorithmE0EiEvPT3_S3_.private_seg_size, 0
	.set _Z16warp_load_kernelILj256ELj4ELj64ELN6hipcub17WarpLoadAlgorithmE0EiEvPT3_S3_.uses_vcc, 1
	.set _Z16warp_load_kernelILj256ELj4ELj64ELN6hipcub17WarpLoadAlgorithmE0EiEvPT3_S3_.uses_flat_scratch, 0
	.set _Z16warp_load_kernelILj256ELj4ELj64ELN6hipcub17WarpLoadAlgorithmE0EiEvPT3_S3_.has_dyn_sized_stack, 0
	.set _Z16warp_load_kernelILj256ELj4ELj64ELN6hipcub17WarpLoadAlgorithmE0EiEvPT3_S3_.has_recursion, 0
	.set _Z16warp_load_kernelILj256ELj4ELj64ELN6hipcub17WarpLoadAlgorithmE0EiEvPT3_S3_.has_indirect_call, 0
	.section	.AMDGPU.csdata,"",@progbits
; Kernel info:
; codeLenInByte = 248
; TotalNumSgprs: 11
; NumVgprs: 16
; ScratchSize: 0
; MemoryBound: 0
; FloatMode: 240
; IeeeMode: 1
; LDSByteSize: 0 bytes/workgroup (compile time only)
; SGPRBlocks: 1
; VGPRBlocks: 3
; NumSGPRsForWavesPerEU: 11
; NumVGPRsForWavesPerEU: 16
; Occupancy: 10
; WaveLimiterHint : 0
; COMPUTE_PGM_RSRC2:SCRATCH_EN: 0
; COMPUTE_PGM_RSRC2:USER_SGPR: 6
; COMPUTE_PGM_RSRC2:TRAP_HANDLER: 0
; COMPUTE_PGM_RSRC2:TGID_X_EN: 1
; COMPUTE_PGM_RSRC2:TGID_Y_EN: 0
; COMPUTE_PGM_RSRC2:TGID_Z_EN: 0
; COMPUTE_PGM_RSRC2:TIDIG_COMP_CNT: 0
	.section	.text._Z16warp_load_kernelILj256ELj4ELj64ELN6hipcub17WarpLoadAlgorithmE1EiEvPT3_S3_,"axG",@progbits,_Z16warp_load_kernelILj256ELj4ELj64ELN6hipcub17WarpLoadAlgorithmE1EiEvPT3_S3_,comdat
	.protected	_Z16warp_load_kernelILj256ELj4ELj64ELN6hipcub17WarpLoadAlgorithmE1EiEvPT3_S3_ ; -- Begin function _Z16warp_load_kernelILj256ELj4ELj64ELN6hipcub17WarpLoadAlgorithmE1EiEvPT3_S3_
	.globl	_Z16warp_load_kernelILj256ELj4ELj64ELN6hipcub17WarpLoadAlgorithmE1EiEvPT3_S3_
	.p2align	8
	.type	_Z16warp_load_kernelILj256ELj4ELj64ELN6hipcub17WarpLoadAlgorithmE1EiEvPT3_S3_,@function
_Z16warp_load_kernelILj256ELj4ELj64ELN6hipcub17WarpLoadAlgorithmE1EiEvPT3_S3_: ; @_Z16warp_load_kernelILj256ELj4ELj64ELN6hipcub17WarpLoadAlgorithmE1EiEvPT3_S3_
; %bb.0:
	v_mbcnt_lo_u32_b32 v1, -1, 0
	s_load_dwordx4 s[0:3], s[4:5], 0x0
	v_mbcnt_hi_u32_b32 v5, -1, v1
	v_lshlrev_b32_e32 v1, 2, v0
	s_lshl_b32 s4, s6, 10
	v_and_b32_e32 v1, 0x300, v1
	v_or_b32_e32 v1, s4, v1
	v_mov_b32_e32 v2, 0
	v_lshlrev_b64 v[3:4], 2, v[1:2]
	s_waitcnt lgkmcnt(0)
	v_mov_b32_e32 v1, s1
	v_add_co_u32_e32 v3, vcc, s0, v3
	v_addc_co_u32_e32 v1, vcc, v1, v4, vcc
	v_lshlrev_b32_e32 v4, 2, v5
	v_add_co_u32_e32 v3, vcc, v3, v4
	v_lshlrev_b32_e32 v4, 4, v5
	v_addc_co_u32_e32 v1, vcc, 0, v1, vcc
	v_and_b32_e32 v4, 0x400, v4
	v_add_co_u32_e32 v3, vcc, v3, v4
	v_addc_co_u32_e32 v4, vcc, 0, v1, vcc
	global_load_dword v9, v[3:4], off
	global_load_dword v10, v[3:4], off offset:256
	global_load_dword v11, v[3:4], off offset:512
	;; [unrolled: 1-line block ×3, first 2 shown]
	v_or_b32_e32 v1, s4, v0
	v_lshlrev_b64 v[7:8], 2, v[1:2]
	v_mov_b32_e32 v4, v2
	v_or_b32_e32 v3, 0x100, v1
	v_mov_b32_e32 v13, s3
	v_lshlrev_b64 v[3:4], 2, v[3:4]
	v_add_co_u32_e32 v7, vcc, s2, v7
	v_mov_b32_e32 v6, v2
	v_or_b32_e32 v5, 0x200, v1
	v_or_b32_e32 v1, 0x300, v1
	v_addc_co_u32_e32 v8, vcc, v13, v8, vcc
	v_mov_b32_e32 v14, s3
	v_lshlrev_b64 v[5:6], 2, v[5:6]
	v_lshlrev_b64 v[0:1], 2, v[1:2]
	v_add_co_u32_e32 v2, vcc, s2, v3
	v_addc_co_u32_e32 v3, vcc, v14, v4, vcc
	v_mov_b32_e32 v15, s3
	v_add_co_u32_e32 v4, vcc, s2, v5
	v_addc_co_u32_e32 v5, vcc, v15, v6, vcc
	v_mov_b32_e32 v16, s3
	v_add_co_u32_e32 v0, vcc, s2, v0
	v_addc_co_u32_e32 v1, vcc, v16, v1, vcc
	s_waitcnt vmcnt(3)
	global_store_dword v[7:8], v9, off
	s_waitcnt vmcnt(3)
	global_store_dword v[2:3], v10, off
	;; [unrolled: 2-line block ×4, first 2 shown]
	s_endpgm
	.section	.rodata,"a",@progbits
	.p2align	6, 0x0
	.amdhsa_kernel _Z16warp_load_kernelILj256ELj4ELj64ELN6hipcub17WarpLoadAlgorithmE1EiEvPT3_S3_
		.amdhsa_group_segment_fixed_size 0
		.amdhsa_private_segment_fixed_size 0
		.amdhsa_kernarg_size 16
		.amdhsa_user_sgpr_count 6
		.amdhsa_user_sgpr_private_segment_buffer 1
		.amdhsa_user_sgpr_dispatch_ptr 0
		.amdhsa_user_sgpr_queue_ptr 0
		.amdhsa_user_sgpr_kernarg_segment_ptr 1
		.amdhsa_user_sgpr_dispatch_id 0
		.amdhsa_user_sgpr_flat_scratch_init 0
		.amdhsa_user_sgpr_private_segment_size 0
		.amdhsa_uses_dynamic_stack 0
		.amdhsa_system_sgpr_private_segment_wavefront_offset 0
		.amdhsa_system_sgpr_workgroup_id_x 1
		.amdhsa_system_sgpr_workgroup_id_y 0
		.amdhsa_system_sgpr_workgroup_id_z 0
		.amdhsa_system_sgpr_workgroup_info 0
		.amdhsa_system_vgpr_workitem_id 0
		.amdhsa_next_free_vgpr 17
		.amdhsa_next_free_sgpr 7
		.amdhsa_reserve_vcc 1
		.amdhsa_reserve_flat_scratch 0
		.amdhsa_float_round_mode_32 0
		.amdhsa_float_round_mode_16_64 0
		.amdhsa_float_denorm_mode_32 3
		.amdhsa_float_denorm_mode_16_64 3
		.amdhsa_dx10_clamp 1
		.amdhsa_ieee_mode 1
		.amdhsa_fp16_overflow 0
		.amdhsa_exception_fp_ieee_invalid_op 0
		.amdhsa_exception_fp_denorm_src 0
		.amdhsa_exception_fp_ieee_div_zero 0
		.amdhsa_exception_fp_ieee_overflow 0
		.amdhsa_exception_fp_ieee_underflow 0
		.amdhsa_exception_fp_ieee_inexact 0
		.amdhsa_exception_int_div_zero 0
	.end_amdhsa_kernel
	.section	.text._Z16warp_load_kernelILj256ELj4ELj64ELN6hipcub17WarpLoadAlgorithmE1EiEvPT3_S3_,"axG",@progbits,_Z16warp_load_kernelILj256ELj4ELj64ELN6hipcub17WarpLoadAlgorithmE1EiEvPT3_S3_,comdat
.Lfunc_end38:
	.size	_Z16warp_load_kernelILj256ELj4ELj64ELN6hipcub17WarpLoadAlgorithmE1EiEvPT3_S3_, .Lfunc_end38-_Z16warp_load_kernelILj256ELj4ELj64ELN6hipcub17WarpLoadAlgorithmE1EiEvPT3_S3_
                                        ; -- End function
	.set _Z16warp_load_kernelILj256ELj4ELj64ELN6hipcub17WarpLoadAlgorithmE1EiEvPT3_S3_.num_vgpr, 17
	.set _Z16warp_load_kernelILj256ELj4ELj64ELN6hipcub17WarpLoadAlgorithmE1EiEvPT3_S3_.num_agpr, 0
	.set _Z16warp_load_kernelILj256ELj4ELj64ELN6hipcub17WarpLoadAlgorithmE1EiEvPT3_S3_.numbered_sgpr, 7
	.set _Z16warp_load_kernelILj256ELj4ELj64ELN6hipcub17WarpLoadAlgorithmE1EiEvPT3_S3_.num_named_barrier, 0
	.set _Z16warp_load_kernelILj256ELj4ELj64ELN6hipcub17WarpLoadAlgorithmE1EiEvPT3_S3_.private_seg_size, 0
	.set _Z16warp_load_kernelILj256ELj4ELj64ELN6hipcub17WarpLoadAlgorithmE1EiEvPT3_S3_.uses_vcc, 1
	.set _Z16warp_load_kernelILj256ELj4ELj64ELN6hipcub17WarpLoadAlgorithmE1EiEvPT3_S3_.uses_flat_scratch, 0
	.set _Z16warp_load_kernelILj256ELj4ELj64ELN6hipcub17WarpLoadAlgorithmE1EiEvPT3_S3_.has_dyn_sized_stack, 0
	.set _Z16warp_load_kernelILj256ELj4ELj64ELN6hipcub17WarpLoadAlgorithmE1EiEvPT3_S3_.has_recursion, 0
	.set _Z16warp_load_kernelILj256ELj4ELj64ELN6hipcub17WarpLoadAlgorithmE1EiEvPT3_S3_.has_indirect_call, 0
	.section	.AMDGPU.csdata,"",@progbits
; Kernel info:
; codeLenInByte = 304
; TotalNumSgprs: 11
; NumVgprs: 17
; ScratchSize: 0
; MemoryBound: 0
; FloatMode: 240
; IeeeMode: 1
; LDSByteSize: 0 bytes/workgroup (compile time only)
; SGPRBlocks: 1
; VGPRBlocks: 4
; NumSGPRsForWavesPerEU: 11
; NumVGPRsForWavesPerEU: 17
; Occupancy: 10
; WaveLimiterHint : 1
; COMPUTE_PGM_RSRC2:SCRATCH_EN: 0
; COMPUTE_PGM_RSRC2:USER_SGPR: 6
; COMPUTE_PGM_RSRC2:TRAP_HANDLER: 0
; COMPUTE_PGM_RSRC2:TGID_X_EN: 1
; COMPUTE_PGM_RSRC2:TGID_Y_EN: 0
; COMPUTE_PGM_RSRC2:TGID_Z_EN: 0
; COMPUTE_PGM_RSRC2:TIDIG_COMP_CNT: 0
	.section	.text._Z16warp_load_kernelILj256ELj4ELj64ELN6hipcub17WarpLoadAlgorithmE2EiEvPT3_S3_,"axG",@progbits,_Z16warp_load_kernelILj256ELj4ELj64ELN6hipcub17WarpLoadAlgorithmE2EiEvPT3_S3_,comdat
	.protected	_Z16warp_load_kernelILj256ELj4ELj64ELN6hipcub17WarpLoadAlgorithmE2EiEvPT3_S3_ ; -- Begin function _Z16warp_load_kernelILj256ELj4ELj64ELN6hipcub17WarpLoadAlgorithmE2EiEvPT3_S3_
	.globl	_Z16warp_load_kernelILj256ELj4ELj64ELN6hipcub17WarpLoadAlgorithmE2EiEvPT3_S3_
	.p2align	8
	.type	_Z16warp_load_kernelILj256ELj4ELj64ELN6hipcub17WarpLoadAlgorithmE2EiEvPT3_S3_,@function
_Z16warp_load_kernelILj256ELj4ELj64ELN6hipcub17WarpLoadAlgorithmE2EiEvPT3_S3_: ; @_Z16warp_load_kernelILj256ELj4ELj64ELN6hipcub17WarpLoadAlgorithmE2EiEvPT3_S3_
; %bb.0:
	v_mbcnt_lo_u32_b32 v1, -1, 0
	s_load_dwordx4 s[0:3], s[4:5], 0x0
	v_mbcnt_hi_u32_b32 v3, -1, v1
	v_lshlrev_b32_e32 v1, 2, v0
	s_lshl_b32 s4, s6, 10
	v_and_b32_e32 v1, 0x300, v1
	v_or_b32_e32 v5, s4, v1
	v_mov_b32_e32 v6, 0
	v_lshlrev_b64 v[1:2], 2, v[5:6]
	s_waitcnt lgkmcnt(0)
	v_mov_b32_e32 v4, s1
	v_add_co_u32_e32 v1, vcc, s0, v1
	v_addc_co_u32_e32 v2, vcc, v4, v2, vcc
	v_lshlrev_b32_e32 v3, 4, v3
	v_add_co_u32_e32 v1, vcc, v1, v3
	v_addc_co_u32_e32 v2, vcc, 0, v2, vcc
	global_load_dwordx4 v[1:4], v[1:2], off
	v_or_b32_e32 v5, s4, v0
	v_lshlrev_b64 v[11:12], 2, v[5:6]
	v_mov_b32_e32 v8, v6
	v_or_b32_e32 v7, 0x100, v5
	v_mov_b32_e32 v0, s3
	v_lshlrev_b64 v[7:8], 2, v[7:8]
	v_add_co_u32_e32 v11, vcc, s2, v11
	v_mov_b32_e32 v10, v6
	v_or_b32_e32 v9, 0x200, v5
	v_addc_co_u32_e32 v12, vcc, v0, v12, vcc
	v_mov_b32_e32 v13, s3
	v_lshlrev_b64 v[9:10], 2, v[9:10]
	v_add_co_u32_e32 v7, vcc, s2, v7
	v_or_b32_e32 v5, 0x300, v5
	v_addc_co_u32_e32 v8, vcc, v13, v8, vcc
	v_mov_b32_e32 v14, s3
	v_lshlrev_b64 v[5:6], 2, v[5:6]
	v_add_co_u32_e32 v9, vcc, s2, v9
	v_addc_co_u32_e32 v10, vcc, v14, v10, vcc
	v_mov_b32_e32 v15, s3
	v_add_co_u32_e32 v5, vcc, s2, v5
	v_addc_co_u32_e32 v6, vcc, v15, v6, vcc
	s_waitcnt vmcnt(0)
	global_store_dword v[11:12], v1, off
	global_store_dword v[7:8], v2, off
	;; [unrolled: 1-line block ×4, first 2 shown]
	s_endpgm
	.section	.rodata,"a",@progbits
	.p2align	6, 0x0
	.amdhsa_kernel _Z16warp_load_kernelILj256ELj4ELj64ELN6hipcub17WarpLoadAlgorithmE2EiEvPT3_S3_
		.amdhsa_group_segment_fixed_size 0
		.amdhsa_private_segment_fixed_size 0
		.amdhsa_kernarg_size 16
		.amdhsa_user_sgpr_count 6
		.amdhsa_user_sgpr_private_segment_buffer 1
		.amdhsa_user_sgpr_dispatch_ptr 0
		.amdhsa_user_sgpr_queue_ptr 0
		.amdhsa_user_sgpr_kernarg_segment_ptr 1
		.amdhsa_user_sgpr_dispatch_id 0
		.amdhsa_user_sgpr_flat_scratch_init 0
		.amdhsa_user_sgpr_private_segment_size 0
		.amdhsa_uses_dynamic_stack 0
		.amdhsa_system_sgpr_private_segment_wavefront_offset 0
		.amdhsa_system_sgpr_workgroup_id_x 1
		.amdhsa_system_sgpr_workgroup_id_y 0
		.amdhsa_system_sgpr_workgroup_id_z 0
		.amdhsa_system_sgpr_workgroup_info 0
		.amdhsa_system_vgpr_workitem_id 0
		.amdhsa_next_free_vgpr 16
		.amdhsa_next_free_sgpr 7
		.amdhsa_reserve_vcc 1
		.amdhsa_reserve_flat_scratch 0
		.amdhsa_float_round_mode_32 0
		.amdhsa_float_round_mode_16_64 0
		.amdhsa_float_denorm_mode_32 3
		.amdhsa_float_denorm_mode_16_64 3
		.amdhsa_dx10_clamp 1
		.amdhsa_ieee_mode 1
		.amdhsa_fp16_overflow 0
		.amdhsa_exception_fp_ieee_invalid_op 0
		.amdhsa_exception_fp_denorm_src 0
		.amdhsa_exception_fp_ieee_div_zero 0
		.amdhsa_exception_fp_ieee_overflow 0
		.amdhsa_exception_fp_ieee_underflow 0
		.amdhsa_exception_fp_ieee_inexact 0
		.amdhsa_exception_int_div_zero 0
	.end_amdhsa_kernel
	.section	.text._Z16warp_load_kernelILj256ELj4ELj64ELN6hipcub17WarpLoadAlgorithmE2EiEvPT3_S3_,"axG",@progbits,_Z16warp_load_kernelILj256ELj4ELj64ELN6hipcub17WarpLoadAlgorithmE2EiEvPT3_S3_,comdat
.Lfunc_end39:
	.size	_Z16warp_load_kernelILj256ELj4ELj64ELN6hipcub17WarpLoadAlgorithmE2EiEvPT3_S3_, .Lfunc_end39-_Z16warp_load_kernelILj256ELj4ELj64ELN6hipcub17WarpLoadAlgorithmE2EiEvPT3_S3_
                                        ; -- End function
	.set _Z16warp_load_kernelILj256ELj4ELj64ELN6hipcub17WarpLoadAlgorithmE2EiEvPT3_S3_.num_vgpr, 16
	.set _Z16warp_load_kernelILj256ELj4ELj64ELN6hipcub17WarpLoadAlgorithmE2EiEvPT3_S3_.num_agpr, 0
	.set _Z16warp_load_kernelILj256ELj4ELj64ELN6hipcub17WarpLoadAlgorithmE2EiEvPT3_S3_.numbered_sgpr, 7
	.set _Z16warp_load_kernelILj256ELj4ELj64ELN6hipcub17WarpLoadAlgorithmE2EiEvPT3_S3_.num_named_barrier, 0
	.set _Z16warp_load_kernelILj256ELj4ELj64ELN6hipcub17WarpLoadAlgorithmE2EiEvPT3_S3_.private_seg_size, 0
	.set _Z16warp_load_kernelILj256ELj4ELj64ELN6hipcub17WarpLoadAlgorithmE2EiEvPT3_S3_.uses_vcc, 1
	.set _Z16warp_load_kernelILj256ELj4ELj64ELN6hipcub17WarpLoadAlgorithmE2EiEvPT3_S3_.uses_flat_scratch, 0
	.set _Z16warp_load_kernelILj256ELj4ELj64ELN6hipcub17WarpLoadAlgorithmE2EiEvPT3_S3_.has_dyn_sized_stack, 0
	.set _Z16warp_load_kernelILj256ELj4ELj64ELN6hipcub17WarpLoadAlgorithmE2EiEvPT3_S3_.has_recursion, 0
	.set _Z16warp_load_kernelILj256ELj4ELj64ELN6hipcub17WarpLoadAlgorithmE2EiEvPT3_S3_.has_indirect_call, 0
	.section	.AMDGPU.csdata,"",@progbits
; Kernel info:
; codeLenInByte = 248
; TotalNumSgprs: 11
; NumVgprs: 16
; ScratchSize: 0
; MemoryBound: 0
; FloatMode: 240
; IeeeMode: 1
; LDSByteSize: 0 bytes/workgroup (compile time only)
; SGPRBlocks: 1
; VGPRBlocks: 3
; NumSGPRsForWavesPerEU: 11
; NumVGPRsForWavesPerEU: 16
; Occupancy: 10
; WaveLimiterHint : 0
; COMPUTE_PGM_RSRC2:SCRATCH_EN: 0
; COMPUTE_PGM_RSRC2:USER_SGPR: 6
; COMPUTE_PGM_RSRC2:TRAP_HANDLER: 0
; COMPUTE_PGM_RSRC2:TGID_X_EN: 1
; COMPUTE_PGM_RSRC2:TGID_Y_EN: 0
; COMPUTE_PGM_RSRC2:TGID_Z_EN: 0
; COMPUTE_PGM_RSRC2:TIDIG_COMP_CNT: 0
	.section	.text._Z16warp_load_kernelILj256ELj4ELj64ELN6hipcub17WarpLoadAlgorithmE3EiEvPT3_S3_,"axG",@progbits,_Z16warp_load_kernelILj256ELj4ELj64ELN6hipcub17WarpLoadAlgorithmE3EiEvPT3_S3_,comdat
	.protected	_Z16warp_load_kernelILj256ELj4ELj64ELN6hipcub17WarpLoadAlgorithmE3EiEvPT3_S3_ ; -- Begin function _Z16warp_load_kernelILj256ELj4ELj64ELN6hipcub17WarpLoadAlgorithmE3EiEvPT3_S3_
	.globl	_Z16warp_load_kernelILj256ELj4ELj64ELN6hipcub17WarpLoadAlgorithmE3EiEvPT3_S3_
	.p2align	8
	.type	_Z16warp_load_kernelILj256ELj4ELj64ELN6hipcub17WarpLoadAlgorithmE3EiEvPT3_S3_,@function
_Z16warp_load_kernelILj256ELj4ELj64ELN6hipcub17WarpLoadAlgorithmE3EiEvPT3_S3_: ; @_Z16warp_load_kernelILj256ELj4ELj64ELN6hipcub17WarpLoadAlgorithmE3EiEvPT3_S3_
; %bb.0:
	s_load_dwordx4 s[0:3], s[4:5], 0x0
	v_lshrrev_b32_e32 v5, 6, v0
	v_mbcnt_lo_u32_b32 v1, -1, 0
	s_lshl_b32 s4, s6, 10
	v_mbcnt_hi_u32_b32 v6, -1, v1
	v_lshl_or_b32 v1, v5, 8, s4
	v_mov_b32_e32 v2, 0
	v_lshlrev_b64 v[3:4], 2, v[1:2]
	s_waitcnt lgkmcnt(0)
	v_mov_b32_e32 v1, s1
	v_add_co_u32_e32 v3, vcc, s0, v3
	v_addc_co_u32_e32 v1, vcc, v1, v4, vcc
	v_lshlrev_b32_e32 v7, 2, v6
	v_add_co_u32_e32 v3, vcc, v3, v7
	v_lshlrev_b32_e32 v8, 4, v6
	v_addc_co_u32_e32 v1, vcc, 0, v1, vcc
	v_and_b32_e32 v4, 0x400, v8
	v_add_co_u32_e32 v3, vcc, v3, v4
	v_addc_co_u32_e32 v4, vcc, 0, v1, vcc
	global_load_dword v13, v[3:4], off
	global_load_dword v14, v[3:4], off offset:256
	global_load_dword v15, v[3:4], off offset:512
	;; [unrolled: 1-line block ×3, first 2 shown]
	v_lshlrev_b32_e32 v1, 10, v5
	v_or_b32_e32 v17, v1, v7
	v_add_u32_e32 v18, v1, v8
	v_or_b32_e32 v1, s4, v0
	v_lshlrev_b64 v[7:8], 2, v[1:2]
	v_mov_b32_e32 v4, v2
	v_or_b32_e32 v3, 0x100, v1
	v_lshlrev_b64 v[3:4], 2, v[3:4]
	v_mov_b32_e32 v0, s3
	v_add_co_u32_e32 v7, vcc, s2, v7
	v_mov_b32_e32 v6, v2
	v_or_b32_e32 v5, 0x200, v1
	v_or_b32_e32 v1, 0x300, v1
	v_addc_co_u32_e32 v8, vcc, v0, v8, vcc
	v_lshlrev_b64 v[5:6], 2, v[5:6]
	v_lshlrev_b64 v[9:10], 2, v[1:2]
	v_mov_b32_e32 v1, s3
	v_add_co_u32_e32 v11, vcc, s2, v3
	v_addc_co_u32_e32 v12, vcc, v1, v4, vcc
	v_mov_b32_e32 v2, s3
	v_add_co_u32_e32 v4, vcc, s2, v5
	v_addc_co_u32_e32 v5, vcc, v2, v6, vcc
	;; [unrolled: 3-line block ×3, first 2 shown]
	s_waitcnt vmcnt(2)
	ds_write2st64_b32 v17, v13, v14 offset1:1
	s_waitcnt vmcnt(0)
	ds_write2st64_b32 v17, v15, v16 offset0:2 offset1:3
	; wave barrier
	ds_read_b128 v[0:3], v18
	s_waitcnt lgkmcnt(0)
	global_store_dword v[7:8], v0, off
	global_store_dword v[11:12], v1, off
	;; [unrolled: 1-line block ×4, first 2 shown]
	s_endpgm
	.section	.rodata,"a",@progbits
	.p2align	6, 0x0
	.amdhsa_kernel _Z16warp_load_kernelILj256ELj4ELj64ELN6hipcub17WarpLoadAlgorithmE3EiEvPT3_S3_
		.amdhsa_group_segment_fixed_size 4096
		.amdhsa_private_segment_fixed_size 0
		.amdhsa_kernarg_size 16
		.amdhsa_user_sgpr_count 6
		.amdhsa_user_sgpr_private_segment_buffer 1
		.amdhsa_user_sgpr_dispatch_ptr 0
		.amdhsa_user_sgpr_queue_ptr 0
		.amdhsa_user_sgpr_kernarg_segment_ptr 1
		.amdhsa_user_sgpr_dispatch_id 0
		.amdhsa_user_sgpr_flat_scratch_init 0
		.amdhsa_user_sgpr_private_segment_size 0
		.amdhsa_uses_dynamic_stack 0
		.amdhsa_system_sgpr_private_segment_wavefront_offset 0
		.amdhsa_system_sgpr_workgroup_id_x 1
		.amdhsa_system_sgpr_workgroup_id_y 0
		.amdhsa_system_sgpr_workgroup_id_z 0
		.amdhsa_system_sgpr_workgroup_info 0
		.amdhsa_system_vgpr_workitem_id 0
		.amdhsa_next_free_vgpr 20
		.amdhsa_next_free_sgpr 7
		.amdhsa_reserve_vcc 1
		.amdhsa_reserve_flat_scratch 0
		.amdhsa_float_round_mode_32 0
		.amdhsa_float_round_mode_16_64 0
		.amdhsa_float_denorm_mode_32 3
		.amdhsa_float_denorm_mode_16_64 3
		.amdhsa_dx10_clamp 1
		.amdhsa_ieee_mode 1
		.amdhsa_fp16_overflow 0
		.amdhsa_exception_fp_ieee_invalid_op 0
		.amdhsa_exception_fp_denorm_src 0
		.amdhsa_exception_fp_ieee_div_zero 0
		.amdhsa_exception_fp_ieee_overflow 0
		.amdhsa_exception_fp_ieee_underflow 0
		.amdhsa_exception_fp_ieee_inexact 0
		.amdhsa_exception_int_div_zero 0
	.end_amdhsa_kernel
	.section	.text._Z16warp_load_kernelILj256ELj4ELj64ELN6hipcub17WarpLoadAlgorithmE3EiEvPT3_S3_,"axG",@progbits,_Z16warp_load_kernelILj256ELj4ELj64ELN6hipcub17WarpLoadAlgorithmE3EiEvPT3_S3_,comdat
.Lfunc_end40:
	.size	_Z16warp_load_kernelILj256ELj4ELj64ELN6hipcub17WarpLoadAlgorithmE3EiEvPT3_S3_, .Lfunc_end40-_Z16warp_load_kernelILj256ELj4ELj64ELN6hipcub17WarpLoadAlgorithmE3EiEvPT3_S3_
                                        ; -- End function
	.set _Z16warp_load_kernelILj256ELj4ELj64ELN6hipcub17WarpLoadAlgorithmE3EiEvPT3_S3_.num_vgpr, 20
	.set _Z16warp_load_kernelILj256ELj4ELj64ELN6hipcub17WarpLoadAlgorithmE3EiEvPT3_S3_.num_agpr, 0
	.set _Z16warp_load_kernelILj256ELj4ELj64ELN6hipcub17WarpLoadAlgorithmE3EiEvPT3_S3_.numbered_sgpr, 7
	.set _Z16warp_load_kernelILj256ELj4ELj64ELN6hipcub17WarpLoadAlgorithmE3EiEvPT3_S3_.num_named_barrier, 0
	.set _Z16warp_load_kernelILj256ELj4ELj64ELN6hipcub17WarpLoadAlgorithmE3EiEvPT3_S3_.private_seg_size, 0
	.set _Z16warp_load_kernelILj256ELj4ELj64ELN6hipcub17WarpLoadAlgorithmE3EiEvPT3_S3_.uses_vcc, 1
	.set _Z16warp_load_kernelILj256ELj4ELj64ELN6hipcub17WarpLoadAlgorithmE3EiEvPT3_S3_.uses_flat_scratch, 0
	.set _Z16warp_load_kernelILj256ELj4ELj64ELN6hipcub17WarpLoadAlgorithmE3EiEvPT3_S3_.has_dyn_sized_stack, 0
	.set _Z16warp_load_kernelILj256ELj4ELj64ELN6hipcub17WarpLoadAlgorithmE3EiEvPT3_S3_.has_recursion, 0
	.set _Z16warp_load_kernelILj256ELj4ELj64ELN6hipcub17WarpLoadAlgorithmE3EiEvPT3_S3_.has_indirect_call, 0
	.section	.AMDGPU.csdata,"",@progbits
; Kernel info:
; codeLenInByte = 332
; TotalNumSgprs: 11
; NumVgprs: 20
; ScratchSize: 0
; MemoryBound: 0
; FloatMode: 240
; IeeeMode: 1
; LDSByteSize: 4096 bytes/workgroup (compile time only)
; SGPRBlocks: 1
; VGPRBlocks: 4
; NumSGPRsForWavesPerEU: 11
; NumVGPRsForWavesPerEU: 20
; Occupancy: 10
; WaveLimiterHint : 1
; COMPUTE_PGM_RSRC2:SCRATCH_EN: 0
; COMPUTE_PGM_RSRC2:USER_SGPR: 6
; COMPUTE_PGM_RSRC2:TRAP_HANDLER: 0
; COMPUTE_PGM_RSRC2:TGID_X_EN: 1
; COMPUTE_PGM_RSRC2:TGID_Y_EN: 0
; COMPUTE_PGM_RSRC2:TGID_Z_EN: 0
; COMPUTE_PGM_RSRC2:TIDIG_COMP_CNT: 0
	.section	.text._Z16warp_load_kernelILj256ELj8ELj64ELN6hipcub17WarpLoadAlgorithmE0EiEvPT3_S3_,"axG",@progbits,_Z16warp_load_kernelILj256ELj8ELj64ELN6hipcub17WarpLoadAlgorithmE0EiEvPT3_S3_,comdat
	.protected	_Z16warp_load_kernelILj256ELj8ELj64ELN6hipcub17WarpLoadAlgorithmE0EiEvPT3_S3_ ; -- Begin function _Z16warp_load_kernelILj256ELj8ELj64ELN6hipcub17WarpLoadAlgorithmE0EiEvPT3_S3_
	.globl	_Z16warp_load_kernelILj256ELj8ELj64ELN6hipcub17WarpLoadAlgorithmE0EiEvPT3_S3_
	.p2align	8
	.type	_Z16warp_load_kernelILj256ELj8ELj64ELN6hipcub17WarpLoadAlgorithmE0EiEvPT3_S3_,@function
_Z16warp_load_kernelILj256ELj8ELj64ELN6hipcub17WarpLoadAlgorithmE0EiEvPT3_S3_: ; @_Z16warp_load_kernelILj256ELj8ELj64ELN6hipcub17WarpLoadAlgorithmE0EiEvPT3_S3_
; %bb.0:
	v_mbcnt_lo_u32_b32 v1, -1, 0
	s_load_dwordx4 s[0:3], s[4:5], 0x0
	v_mbcnt_hi_u32_b32 v3, -1, v1
	v_lshlrev_b32_e32 v1, 3, v0
	s_lshl_b32 s4, s6, 11
	v_and_b32_e32 v1, 0x600, v1
	v_or_b32_e32 v5, s4, v1
	v_mov_b32_e32 v6, 0
	v_lshlrev_b64 v[1:2], 2, v[5:6]
	s_waitcnt lgkmcnt(0)
	v_mov_b32_e32 v4, s1
	v_add_co_u32_e32 v1, vcc, s0, v1
	v_addc_co_u32_e32 v2, vcc, v4, v2, vcc
	v_lshlrev_b32_e32 v3, 5, v3
	v_or_b32_e32 v5, s4, v0
	v_add_co_u32_e32 v7, vcc, v1, v3
	v_lshlrev_b64 v[9:10], 2, v[5:6]
	v_addc_co_u32_e32 v8, vcc, 0, v2, vcc
	v_or_b32_e32 v11, 0x400, v5
	v_mov_b32_e32 v12, v6
	v_mov_b32_e32 v0, s3
	v_add_co_u32_e32 v9, vcc, s2, v9
	v_lshlrev_b64 v[11:12], 2, v[11:12]
	v_addc_co_u32_e32 v10, vcc, v0, v10, vcc
	v_or_b32_e32 v13, 0x500, v5
	v_mov_b32_e32 v14, v6
	v_add_co_u32_e32 v11, vcc, s2, v11
	v_lshlrev_b64 v[13:14], 2, v[13:14]
	v_addc_co_u32_e32 v12, vcc, v0, v12, vcc
	v_or_b32_e32 v15, 0x600, v5
	v_mov_b32_e32 v16, v6
	v_add_co_u32_e32 v13, vcc, s2, v13
	v_lshlrev_b64 v[15:16], 2, v[15:16]
	global_load_dwordx4 v[1:4], v[7:8], off
	v_addc_co_u32_e32 v14, vcc, v0, v14, vcc
	v_or_b32_e32 v5, 0x700, v5
	v_add_co_u32_e32 v15, vcc, s2, v15
	v_lshlrev_b64 v[5:6], 2, v[5:6]
	v_addc_co_u32_e32 v16, vcc, v0, v16, vcc
	v_add_co_u32_e32 v17, vcc, s2, v5
	v_addc_co_u32_e32 v18, vcc, v0, v6, vcc
	global_load_dwordx4 v[5:8], v[7:8], off offset:16
	s_waitcnt vmcnt(1)
	global_store_dword v[9:10], v1, off
	global_store_dword v[9:10], v2, off offset:1024
	global_store_dword v[9:10], v3, off offset:2048
	;; [unrolled: 1-line block ×3, first 2 shown]
	s_waitcnt vmcnt(4)
	global_store_dword v[11:12], v5, off
	global_store_dword v[13:14], v6, off
	;; [unrolled: 1-line block ×4, first 2 shown]
	s_endpgm
	.section	.rodata,"a",@progbits
	.p2align	6, 0x0
	.amdhsa_kernel _Z16warp_load_kernelILj256ELj8ELj64ELN6hipcub17WarpLoadAlgorithmE0EiEvPT3_S3_
		.amdhsa_group_segment_fixed_size 0
		.amdhsa_private_segment_fixed_size 0
		.amdhsa_kernarg_size 16
		.amdhsa_user_sgpr_count 6
		.amdhsa_user_sgpr_private_segment_buffer 1
		.amdhsa_user_sgpr_dispatch_ptr 0
		.amdhsa_user_sgpr_queue_ptr 0
		.amdhsa_user_sgpr_kernarg_segment_ptr 1
		.amdhsa_user_sgpr_dispatch_id 0
		.amdhsa_user_sgpr_flat_scratch_init 0
		.amdhsa_user_sgpr_private_segment_size 0
		.amdhsa_uses_dynamic_stack 0
		.amdhsa_system_sgpr_private_segment_wavefront_offset 0
		.amdhsa_system_sgpr_workgroup_id_x 1
		.amdhsa_system_sgpr_workgroup_id_y 0
		.amdhsa_system_sgpr_workgroup_id_z 0
		.amdhsa_system_sgpr_workgroup_info 0
		.amdhsa_system_vgpr_workitem_id 0
		.amdhsa_next_free_vgpr 19
		.amdhsa_next_free_sgpr 7
		.amdhsa_reserve_vcc 1
		.amdhsa_reserve_flat_scratch 0
		.amdhsa_float_round_mode_32 0
		.amdhsa_float_round_mode_16_64 0
		.amdhsa_float_denorm_mode_32 3
		.amdhsa_float_denorm_mode_16_64 3
		.amdhsa_dx10_clamp 1
		.amdhsa_ieee_mode 1
		.amdhsa_fp16_overflow 0
		.amdhsa_exception_fp_ieee_invalid_op 0
		.amdhsa_exception_fp_denorm_src 0
		.amdhsa_exception_fp_ieee_div_zero 0
		.amdhsa_exception_fp_ieee_overflow 0
		.amdhsa_exception_fp_ieee_underflow 0
		.amdhsa_exception_fp_ieee_inexact 0
		.amdhsa_exception_int_div_zero 0
	.end_amdhsa_kernel
	.section	.text._Z16warp_load_kernelILj256ELj8ELj64ELN6hipcub17WarpLoadAlgorithmE0EiEvPT3_S3_,"axG",@progbits,_Z16warp_load_kernelILj256ELj8ELj64ELN6hipcub17WarpLoadAlgorithmE0EiEvPT3_S3_,comdat
.Lfunc_end41:
	.size	_Z16warp_load_kernelILj256ELj8ELj64ELN6hipcub17WarpLoadAlgorithmE0EiEvPT3_S3_, .Lfunc_end41-_Z16warp_load_kernelILj256ELj8ELj64ELN6hipcub17WarpLoadAlgorithmE0EiEvPT3_S3_
                                        ; -- End function
	.set _Z16warp_load_kernelILj256ELj8ELj64ELN6hipcub17WarpLoadAlgorithmE0EiEvPT3_S3_.num_vgpr, 19
	.set _Z16warp_load_kernelILj256ELj8ELj64ELN6hipcub17WarpLoadAlgorithmE0EiEvPT3_S3_.num_agpr, 0
	.set _Z16warp_load_kernelILj256ELj8ELj64ELN6hipcub17WarpLoadAlgorithmE0EiEvPT3_S3_.numbered_sgpr, 7
	.set _Z16warp_load_kernelILj256ELj8ELj64ELN6hipcub17WarpLoadAlgorithmE0EiEvPT3_S3_.num_named_barrier, 0
	.set _Z16warp_load_kernelILj256ELj8ELj64ELN6hipcub17WarpLoadAlgorithmE0EiEvPT3_S3_.private_seg_size, 0
	.set _Z16warp_load_kernelILj256ELj8ELj64ELN6hipcub17WarpLoadAlgorithmE0EiEvPT3_S3_.uses_vcc, 1
	.set _Z16warp_load_kernelILj256ELj8ELj64ELN6hipcub17WarpLoadAlgorithmE0EiEvPT3_S3_.uses_flat_scratch, 0
	.set _Z16warp_load_kernelILj256ELj8ELj64ELN6hipcub17WarpLoadAlgorithmE0EiEvPT3_S3_.has_dyn_sized_stack, 0
	.set _Z16warp_load_kernelILj256ELj8ELj64ELN6hipcub17WarpLoadAlgorithmE0EiEvPT3_S3_.has_recursion, 0
	.set _Z16warp_load_kernelILj256ELj8ELj64ELN6hipcub17WarpLoadAlgorithmE0EiEvPT3_S3_.has_indirect_call, 0
	.section	.AMDGPU.csdata,"",@progbits
; Kernel info:
; codeLenInByte = 308
; TotalNumSgprs: 11
; NumVgprs: 19
; ScratchSize: 0
; MemoryBound: 0
; FloatMode: 240
; IeeeMode: 1
; LDSByteSize: 0 bytes/workgroup (compile time only)
; SGPRBlocks: 1
; VGPRBlocks: 4
; NumSGPRsForWavesPerEU: 11
; NumVGPRsForWavesPerEU: 19
; Occupancy: 10
; WaveLimiterHint : 1
; COMPUTE_PGM_RSRC2:SCRATCH_EN: 0
; COMPUTE_PGM_RSRC2:USER_SGPR: 6
; COMPUTE_PGM_RSRC2:TRAP_HANDLER: 0
; COMPUTE_PGM_RSRC2:TGID_X_EN: 1
; COMPUTE_PGM_RSRC2:TGID_Y_EN: 0
; COMPUTE_PGM_RSRC2:TGID_Z_EN: 0
; COMPUTE_PGM_RSRC2:TIDIG_COMP_CNT: 0
	.section	.text._Z16warp_load_kernelILj256ELj8ELj64ELN6hipcub17WarpLoadAlgorithmE1EiEvPT3_S3_,"axG",@progbits,_Z16warp_load_kernelILj256ELj8ELj64ELN6hipcub17WarpLoadAlgorithmE1EiEvPT3_S3_,comdat
	.protected	_Z16warp_load_kernelILj256ELj8ELj64ELN6hipcub17WarpLoadAlgorithmE1EiEvPT3_S3_ ; -- Begin function _Z16warp_load_kernelILj256ELj8ELj64ELN6hipcub17WarpLoadAlgorithmE1EiEvPT3_S3_
	.globl	_Z16warp_load_kernelILj256ELj8ELj64ELN6hipcub17WarpLoadAlgorithmE1EiEvPT3_S3_
	.p2align	8
	.type	_Z16warp_load_kernelILj256ELj8ELj64ELN6hipcub17WarpLoadAlgorithmE1EiEvPT3_S3_,@function
_Z16warp_load_kernelILj256ELj8ELj64ELN6hipcub17WarpLoadAlgorithmE1EiEvPT3_S3_: ; @_Z16warp_load_kernelILj256ELj8ELj64ELN6hipcub17WarpLoadAlgorithmE1EiEvPT3_S3_
; %bb.0:
	v_mbcnt_lo_u32_b32 v1, -1, 0
	s_load_dwordx4 s[0:3], s[4:5], 0x0
	v_mbcnt_hi_u32_b32 v5, -1, v1
	v_lshlrev_b32_e32 v1, 3, v0
	s_lshl_b32 s4, s6, 11
	v_and_b32_e32 v1, 0x600, v1
	v_or_b32_e32 v1, s4, v1
	v_mov_b32_e32 v2, 0
	v_lshlrev_b64 v[3:4], 2, v[1:2]
	s_waitcnt lgkmcnt(0)
	v_mov_b32_e32 v1, s1
	v_add_co_u32_e32 v3, vcc, s0, v3
	v_addc_co_u32_e32 v1, vcc, v1, v4, vcc
	v_lshlrev_b32_e32 v4, 2, v5
	v_add_co_u32_e32 v3, vcc, v3, v4
	v_lshlrev_b32_e32 v4, 5, v5
	v_addc_co_u32_e32 v1, vcc, 0, v1, vcc
	v_and_b32_e32 v4, 0x800, v4
	v_add_co_u32_e32 v3, vcc, v3, v4
	v_addc_co_u32_e32 v4, vcc, 0, v1, vcc
	v_or_b32_e32 v1, s4, v0
	v_lshlrev_b64 v[5:6], 2, v[1:2]
	v_or_b32_e32 v7, 0x400, v1
	v_mov_b32_e32 v8, v2
	v_mov_b32_e32 v0, s3
	v_add_co_u32_e32 v5, vcc, s2, v5
	v_lshlrev_b64 v[7:8], 2, v[7:8]
	v_addc_co_u32_e32 v6, vcc, v0, v6, vcc
	v_or_b32_e32 v9, 0x500, v1
	v_mov_b32_e32 v10, v2
	v_add_co_u32_e32 v7, vcc, s2, v7
	v_lshlrev_b64 v[9:10], 2, v[9:10]
	v_addc_co_u32_e32 v8, vcc, v0, v8, vcc
	v_or_b32_e32 v11, 0x600, v1
	v_mov_b32_e32 v12, v2
	v_add_co_u32_e32 v9, vcc, s2, v9
	v_lshlrev_b64 v[11:12], 2, v[11:12]
	v_addc_co_u32_e32 v10, vcc, v0, v10, vcc
	v_add_co_u32_e32 v11, vcc, s2, v11
	v_or_b32_e32 v1, 0x700, v1
	v_addc_co_u32_e32 v12, vcc, v0, v12, vcc
	v_lshlrev_b64 v[0:1], 2, v[1:2]
	v_mov_b32_e32 v2, s3
	v_add_co_u32_e32 v0, vcc, s2, v0
	v_addc_co_u32_e32 v1, vcc, v2, v1, vcc
	global_load_dword v2, v[3:4], off
	global_load_dword v13, v[3:4], off offset:256
	global_load_dword v14, v[3:4], off offset:512
	;; [unrolled: 1-line block ×7, first 2 shown]
	s_waitcnt vmcnt(7)
	global_store_dword v[5:6], v2, off
	s_waitcnt vmcnt(7)
	global_store_dword v[5:6], v13, off offset:1024
	s_waitcnt vmcnt(7)
	global_store_dword v[5:6], v14, off offset:2048
	;; [unrolled: 2-line block ×3, first 2 shown]
	s_waitcnt vmcnt(7)
	global_store_dword v[7:8], v16, off
	s_waitcnt vmcnt(7)
	global_store_dword v[9:10], v17, off
	;; [unrolled: 2-line block ×4, first 2 shown]
	s_endpgm
	.section	.rodata,"a",@progbits
	.p2align	6, 0x0
	.amdhsa_kernel _Z16warp_load_kernelILj256ELj8ELj64ELN6hipcub17WarpLoadAlgorithmE1EiEvPT3_S3_
		.amdhsa_group_segment_fixed_size 0
		.amdhsa_private_segment_fixed_size 0
		.amdhsa_kernarg_size 16
		.amdhsa_user_sgpr_count 6
		.amdhsa_user_sgpr_private_segment_buffer 1
		.amdhsa_user_sgpr_dispatch_ptr 0
		.amdhsa_user_sgpr_queue_ptr 0
		.amdhsa_user_sgpr_kernarg_segment_ptr 1
		.amdhsa_user_sgpr_dispatch_id 0
		.amdhsa_user_sgpr_flat_scratch_init 0
		.amdhsa_user_sgpr_private_segment_size 0
		.amdhsa_uses_dynamic_stack 0
		.amdhsa_system_sgpr_private_segment_wavefront_offset 0
		.amdhsa_system_sgpr_workgroup_id_x 1
		.amdhsa_system_sgpr_workgroup_id_y 0
		.amdhsa_system_sgpr_workgroup_id_z 0
		.amdhsa_system_sgpr_workgroup_info 0
		.amdhsa_system_vgpr_workitem_id 0
		.amdhsa_next_free_vgpr 20
		.amdhsa_next_free_sgpr 7
		.amdhsa_reserve_vcc 1
		.amdhsa_reserve_flat_scratch 0
		.amdhsa_float_round_mode_32 0
		.amdhsa_float_round_mode_16_64 0
		.amdhsa_float_denorm_mode_32 3
		.amdhsa_float_denorm_mode_16_64 3
		.amdhsa_dx10_clamp 1
		.amdhsa_ieee_mode 1
		.amdhsa_fp16_overflow 0
		.amdhsa_exception_fp_ieee_invalid_op 0
		.amdhsa_exception_fp_denorm_src 0
		.amdhsa_exception_fp_ieee_div_zero 0
		.amdhsa_exception_fp_ieee_overflow 0
		.amdhsa_exception_fp_ieee_underflow 0
		.amdhsa_exception_fp_ieee_inexact 0
		.amdhsa_exception_int_div_zero 0
	.end_amdhsa_kernel
	.section	.text._Z16warp_load_kernelILj256ELj8ELj64ELN6hipcub17WarpLoadAlgorithmE1EiEvPT3_S3_,"axG",@progbits,_Z16warp_load_kernelILj256ELj8ELj64ELN6hipcub17WarpLoadAlgorithmE1EiEvPT3_S3_,comdat
.Lfunc_end42:
	.size	_Z16warp_load_kernelILj256ELj8ELj64ELN6hipcub17WarpLoadAlgorithmE1EiEvPT3_S3_, .Lfunc_end42-_Z16warp_load_kernelILj256ELj8ELj64ELN6hipcub17WarpLoadAlgorithmE1EiEvPT3_S3_
                                        ; -- End function
	.set _Z16warp_load_kernelILj256ELj8ELj64ELN6hipcub17WarpLoadAlgorithmE1EiEvPT3_S3_.num_vgpr, 20
	.set _Z16warp_load_kernelILj256ELj8ELj64ELN6hipcub17WarpLoadAlgorithmE1EiEvPT3_S3_.num_agpr, 0
	.set _Z16warp_load_kernelILj256ELj8ELj64ELN6hipcub17WarpLoadAlgorithmE1EiEvPT3_S3_.numbered_sgpr, 7
	.set _Z16warp_load_kernelILj256ELj8ELj64ELN6hipcub17WarpLoadAlgorithmE1EiEvPT3_S3_.num_named_barrier, 0
	.set _Z16warp_load_kernelILj256ELj8ELj64ELN6hipcub17WarpLoadAlgorithmE1EiEvPT3_S3_.private_seg_size, 0
	.set _Z16warp_load_kernelILj256ELj8ELj64ELN6hipcub17WarpLoadAlgorithmE1EiEvPT3_S3_.uses_vcc, 1
	.set _Z16warp_load_kernelILj256ELj8ELj64ELN6hipcub17WarpLoadAlgorithmE1EiEvPT3_S3_.uses_flat_scratch, 0
	.set _Z16warp_load_kernelILj256ELj8ELj64ELN6hipcub17WarpLoadAlgorithmE1EiEvPT3_S3_.has_dyn_sized_stack, 0
	.set _Z16warp_load_kernelILj256ELj8ELj64ELN6hipcub17WarpLoadAlgorithmE1EiEvPT3_S3_.has_recursion, 0
	.set _Z16warp_load_kernelILj256ELj8ELj64ELN6hipcub17WarpLoadAlgorithmE1EiEvPT3_S3_.has_indirect_call, 0
	.section	.AMDGPU.csdata,"",@progbits
; Kernel info:
; codeLenInByte = 404
; TotalNumSgprs: 11
; NumVgprs: 20
; ScratchSize: 0
; MemoryBound: 0
; FloatMode: 240
; IeeeMode: 1
; LDSByteSize: 0 bytes/workgroup (compile time only)
; SGPRBlocks: 1
; VGPRBlocks: 4
; NumSGPRsForWavesPerEU: 11
; NumVGPRsForWavesPerEU: 20
; Occupancy: 10
; WaveLimiterHint : 1
; COMPUTE_PGM_RSRC2:SCRATCH_EN: 0
; COMPUTE_PGM_RSRC2:USER_SGPR: 6
; COMPUTE_PGM_RSRC2:TRAP_HANDLER: 0
; COMPUTE_PGM_RSRC2:TGID_X_EN: 1
; COMPUTE_PGM_RSRC2:TGID_Y_EN: 0
; COMPUTE_PGM_RSRC2:TGID_Z_EN: 0
; COMPUTE_PGM_RSRC2:TIDIG_COMP_CNT: 0
	.section	.text._Z16warp_load_kernelILj256ELj8ELj64ELN6hipcub17WarpLoadAlgorithmE2EiEvPT3_S3_,"axG",@progbits,_Z16warp_load_kernelILj256ELj8ELj64ELN6hipcub17WarpLoadAlgorithmE2EiEvPT3_S3_,comdat
	.protected	_Z16warp_load_kernelILj256ELj8ELj64ELN6hipcub17WarpLoadAlgorithmE2EiEvPT3_S3_ ; -- Begin function _Z16warp_load_kernelILj256ELj8ELj64ELN6hipcub17WarpLoadAlgorithmE2EiEvPT3_S3_
	.globl	_Z16warp_load_kernelILj256ELj8ELj64ELN6hipcub17WarpLoadAlgorithmE2EiEvPT3_S3_
	.p2align	8
	.type	_Z16warp_load_kernelILj256ELj8ELj64ELN6hipcub17WarpLoadAlgorithmE2EiEvPT3_S3_,@function
_Z16warp_load_kernelILj256ELj8ELj64ELN6hipcub17WarpLoadAlgorithmE2EiEvPT3_S3_: ; @_Z16warp_load_kernelILj256ELj8ELj64ELN6hipcub17WarpLoadAlgorithmE2EiEvPT3_S3_
; %bb.0:
	v_mbcnt_lo_u32_b32 v1, -1, 0
	s_load_dwordx4 s[0:3], s[4:5], 0x0
	v_mbcnt_hi_u32_b32 v3, -1, v1
	v_lshlrev_b32_e32 v1, 3, v0
	s_lshl_b32 s4, s6, 11
	v_and_b32_e32 v1, 0x600, v1
	v_or_b32_e32 v5, s4, v1
	v_mov_b32_e32 v6, 0
	v_lshlrev_b64 v[1:2], 2, v[5:6]
	s_waitcnt lgkmcnt(0)
	v_mov_b32_e32 v4, s1
	v_add_co_u32_e32 v1, vcc, s0, v1
	v_addc_co_u32_e32 v2, vcc, v4, v2, vcc
	v_lshlrev_b32_e32 v3, 5, v3
	v_or_b32_e32 v5, s4, v0
	v_add_co_u32_e32 v7, vcc, v1, v3
	v_lshlrev_b64 v[9:10], 2, v[5:6]
	v_addc_co_u32_e32 v8, vcc, 0, v2, vcc
	v_or_b32_e32 v11, 0x400, v5
	v_mov_b32_e32 v12, v6
	v_mov_b32_e32 v0, s3
	v_add_co_u32_e32 v9, vcc, s2, v9
	v_lshlrev_b64 v[11:12], 2, v[11:12]
	v_addc_co_u32_e32 v10, vcc, v0, v10, vcc
	v_or_b32_e32 v13, 0x500, v5
	v_mov_b32_e32 v14, v6
	v_add_co_u32_e32 v11, vcc, s2, v11
	v_lshlrev_b64 v[13:14], 2, v[13:14]
	v_addc_co_u32_e32 v12, vcc, v0, v12, vcc
	v_or_b32_e32 v15, 0x600, v5
	v_mov_b32_e32 v16, v6
	v_add_co_u32_e32 v13, vcc, s2, v13
	v_lshlrev_b64 v[15:16], 2, v[15:16]
	global_load_dwordx4 v[1:4], v[7:8], off
	v_addc_co_u32_e32 v14, vcc, v0, v14, vcc
	v_or_b32_e32 v5, 0x700, v5
	v_add_co_u32_e32 v15, vcc, s2, v15
	v_lshlrev_b64 v[5:6], 2, v[5:6]
	v_addc_co_u32_e32 v16, vcc, v0, v16, vcc
	v_add_co_u32_e32 v17, vcc, s2, v5
	v_addc_co_u32_e32 v18, vcc, v0, v6, vcc
	global_load_dwordx4 v[5:8], v[7:8], off offset:16
	s_waitcnt vmcnt(1)
	global_store_dword v[9:10], v1, off
	global_store_dword v[9:10], v2, off offset:1024
	global_store_dword v[9:10], v3, off offset:2048
	;; [unrolled: 1-line block ×3, first 2 shown]
	s_waitcnt vmcnt(4)
	global_store_dword v[11:12], v5, off
	global_store_dword v[13:14], v6, off
	;; [unrolled: 1-line block ×4, first 2 shown]
	s_endpgm
	.section	.rodata,"a",@progbits
	.p2align	6, 0x0
	.amdhsa_kernel _Z16warp_load_kernelILj256ELj8ELj64ELN6hipcub17WarpLoadAlgorithmE2EiEvPT3_S3_
		.amdhsa_group_segment_fixed_size 0
		.amdhsa_private_segment_fixed_size 0
		.amdhsa_kernarg_size 16
		.amdhsa_user_sgpr_count 6
		.amdhsa_user_sgpr_private_segment_buffer 1
		.amdhsa_user_sgpr_dispatch_ptr 0
		.amdhsa_user_sgpr_queue_ptr 0
		.amdhsa_user_sgpr_kernarg_segment_ptr 1
		.amdhsa_user_sgpr_dispatch_id 0
		.amdhsa_user_sgpr_flat_scratch_init 0
		.amdhsa_user_sgpr_private_segment_size 0
		.amdhsa_uses_dynamic_stack 0
		.amdhsa_system_sgpr_private_segment_wavefront_offset 0
		.amdhsa_system_sgpr_workgroup_id_x 1
		.amdhsa_system_sgpr_workgroup_id_y 0
		.amdhsa_system_sgpr_workgroup_id_z 0
		.amdhsa_system_sgpr_workgroup_info 0
		.amdhsa_system_vgpr_workitem_id 0
		.amdhsa_next_free_vgpr 19
		.amdhsa_next_free_sgpr 7
		.amdhsa_reserve_vcc 1
		.amdhsa_reserve_flat_scratch 0
		.amdhsa_float_round_mode_32 0
		.amdhsa_float_round_mode_16_64 0
		.amdhsa_float_denorm_mode_32 3
		.amdhsa_float_denorm_mode_16_64 3
		.amdhsa_dx10_clamp 1
		.amdhsa_ieee_mode 1
		.amdhsa_fp16_overflow 0
		.amdhsa_exception_fp_ieee_invalid_op 0
		.amdhsa_exception_fp_denorm_src 0
		.amdhsa_exception_fp_ieee_div_zero 0
		.amdhsa_exception_fp_ieee_overflow 0
		.amdhsa_exception_fp_ieee_underflow 0
		.amdhsa_exception_fp_ieee_inexact 0
		.amdhsa_exception_int_div_zero 0
	.end_amdhsa_kernel
	.section	.text._Z16warp_load_kernelILj256ELj8ELj64ELN6hipcub17WarpLoadAlgorithmE2EiEvPT3_S3_,"axG",@progbits,_Z16warp_load_kernelILj256ELj8ELj64ELN6hipcub17WarpLoadAlgorithmE2EiEvPT3_S3_,comdat
.Lfunc_end43:
	.size	_Z16warp_load_kernelILj256ELj8ELj64ELN6hipcub17WarpLoadAlgorithmE2EiEvPT3_S3_, .Lfunc_end43-_Z16warp_load_kernelILj256ELj8ELj64ELN6hipcub17WarpLoadAlgorithmE2EiEvPT3_S3_
                                        ; -- End function
	.set _Z16warp_load_kernelILj256ELj8ELj64ELN6hipcub17WarpLoadAlgorithmE2EiEvPT3_S3_.num_vgpr, 19
	.set _Z16warp_load_kernelILj256ELj8ELj64ELN6hipcub17WarpLoadAlgorithmE2EiEvPT3_S3_.num_agpr, 0
	.set _Z16warp_load_kernelILj256ELj8ELj64ELN6hipcub17WarpLoadAlgorithmE2EiEvPT3_S3_.numbered_sgpr, 7
	.set _Z16warp_load_kernelILj256ELj8ELj64ELN6hipcub17WarpLoadAlgorithmE2EiEvPT3_S3_.num_named_barrier, 0
	.set _Z16warp_load_kernelILj256ELj8ELj64ELN6hipcub17WarpLoadAlgorithmE2EiEvPT3_S3_.private_seg_size, 0
	.set _Z16warp_load_kernelILj256ELj8ELj64ELN6hipcub17WarpLoadAlgorithmE2EiEvPT3_S3_.uses_vcc, 1
	.set _Z16warp_load_kernelILj256ELj8ELj64ELN6hipcub17WarpLoadAlgorithmE2EiEvPT3_S3_.uses_flat_scratch, 0
	.set _Z16warp_load_kernelILj256ELj8ELj64ELN6hipcub17WarpLoadAlgorithmE2EiEvPT3_S3_.has_dyn_sized_stack, 0
	.set _Z16warp_load_kernelILj256ELj8ELj64ELN6hipcub17WarpLoadAlgorithmE2EiEvPT3_S3_.has_recursion, 0
	.set _Z16warp_load_kernelILj256ELj8ELj64ELN6hipcub17WarpLoadAlgorithmE2EiEvPT3_S3_.has_indirect_call, 0
	.section	.AMDGPU.csdata,"",@progbits
; Kernel info:
; codeLenInByte = 308
; TotalNumSgprs: 11
; NumVgprs: 19
; ScratchSize: 0
; MemoryBound: 0
; FloatMode: 240
; IeeeMode: 1
; LDSByteSize: 0 bytes/workgroup (compile time only)
; SGPRBlocks: 1
; VGPRBlocks: 4
; NumSGPRsForWavesPerEU: 11
; NumVGPRsForWavesPerEU: 19
; Occupancy: 10
; WaveLimiterHint : 1
; COMPUTE_PGM_RSRC2:SCRATCH_EN: 0
; COMPUTE_PGM_RSRC2:USER_SGPR: 6
; COMPUTE_PGM_RSRC2:TRAP_HANDLER: 0
; COMPUTE_PGM_RSRC2:TGID_X_EN: 1
; COMPUTE_PGM_RSRC2:TGID_Y_EN: 0
; COMPUTE_PGM_RSRC2:TGID_Z_EN: 0
; COMPUTE_PGM_RSRC2:TIDIG_COMP_CNT: 0
	.section	.text._Z16warp_load_kernelILj256ELj8ELj64ELN6hipcub17WarpLoadAlgorithmE3EiEvPT3_S3_,"axG",@progbits,_Z16warp_load_kernelILj256ELj8ELj64ELN6hipcub17WarpLoadAlgorithmE3EiEvPT3_S3_,comdat
	.protected	_Z16warp_load_kernelILj256ELj8ELj64ELN6hipcub17WarpLoadAlgorithmE3EiEvPT3_S3_ ; -- Begin function _Z16warp_load_kernelILj256ELj8ELj64ELN6hipcub17WarpLoadAlgorithmE3EiEvPT3_S3_
	.globl	_Z16warp_load_kernelILj256ELj8ELj64ELN6hipcub17WarpLoadAlgorithmE3EiEvPT3_S3_
	.p2align	8
	.type	_Z16warp_load_kernelILj256ELj8ELj64ELN6hipcub17WarpLoadAlgorithmE3EiEvPT3_S3_,@function
_Z16warp_load_kernelILj256ELj8ELj64ELN6hipcub17WarpLoadAlgorithmE3EiEvPT3_S3_: ; @_Z16warp_load_kernelILj256ELj8ELj64ELN6hipcub17WarpLoadAlgorithmE3EiEvPT3_S3_
; %bb.0:
	s_load_dwordx4 s[0:3], s[4:5], 0x0
	v_lshrrev_b32_e32 v5, 6, v0
	v_mbcnt_lo_u32_b32 v1, -1, 0
	s_lshl_b32 s4, s6, 11
	v_mbcnt_hi_u32_b32 v6, -1, v1
	v_lshl_or_b32 v1, v5, 9, s4
	v_mov_b32_e32 v2, 0
	v_lshlrev_b64 v[3:4], 2, v[1:2]
	s_waitcnt lgkmcnt(0)
	v_mov_b32_e32 v1, s1
	v_add_co_u32_e32 v3, vcc, s0, v3
	v_addc_co_u32_e32 v1, vcc, v1, v4, vcc
	v_lshlrev_b32_e32 v7, 2, v6
	v_add_co_u32_e32 v3, vcc, v3, v7
	v_lshlrev_b32_e32 v9, 5, v6
	v_addc_co_u32_e32 v1, vcc, 0, v1, vcc
	v_and_b32_e32 v4, 0x800, v9
	v_add_co_u32_e32 v3, vcc, v3, v4
	v_addc_co_u32_e32 v4, vcc, 0, v1, vcc
	global_load_dword v19, v[3:4], off
	global_load_dword v20, v[3:4], off offset:256
	global_load_dword v21, v[3:4], off offset:512
	;; [unrolled: 1-line block ×7, first 2 shown]
	v_lshlrev_b32_e32 v1, 11, v5
	v_or_b32_e32 v27, v1, v7
	v_add_u32_e32 v28, v1, v9
	v_or_b32_e32 v1, s4, v0
	v_lshlrev_b64 v[9:10], 2, v[1:2]
	v_mov_b32_e32 v4, v2
	v_or_b32_e32 v3, 0x400, v1
	v_lshlrev_b64 v[3:4], 2, v[3:4]
	v_mov_b32_e32 v0, s3
	v_add_co_u32_e32 v9, vcc, s2, v9
	v_mov_b32_e32 v6, v2
	v_or_b32_e32 v5, 0x500, v1
	v_or_b32_e32 v7, 0x600, v1
	;; [unrolled: 1-line block ×3, first 2 shown]
	v_addc_co_u32_e32 v10, vcc, v0, v10, vcc
	v_lshlrev_b64 v[5:6], 2, v[5:6]
	v_lshlrev_b64 v[11:12], 2, v[1:2]
	v_mov_b32_e32 v1, s3
	v_add_co_u32_e32 v13, vcc, s2, v3
	v_addc_co_u32_e32 v14, vcc, v1, v4, vcc
	v_mov_b32_e32 v8, v2
	v_mov_b32_e32 v2, s3
	v_add_co_u32_e32 v15, vcc, s2, v5
	v_lshlrev_b64 v[7:8], 2, v[7:8]
	v_addc_co_u32_e32 v16, vcc, v2, v6, vcc
	v_mov_b32_e32 v18, s3
	v_add_co_u32_e32 v17, vcc, s2, v7
	v_addc_co_u32_e32 v18, vcc, v18, v8, vcc
	v_mov_b32_e32 v29, s3
	v_add_co_u32_e32 v11, vcc, s2, v11
	v_addc_co_u32_e32 v12, vcc, v29, v12, vcc
	s_waitcnt vmcnt(6)
	ds_write2st64_b32 v27, v19, v20 offset1:1
	s_waitcnt vmcnt(4)
	ds_write2st64_b32 v27, v21, v22 offset0:2 offset1:3
	s_waitcnt vmcnt(2)
	ds_write2st64_b32 v27, v23, v24 offset0:4 offset1:5
	;; [unrolled: 2-line block ×3, first 2 shown]
	; wave barrier
	ds_read_b128 v[0:3], v28
	ds_read_b128 v[4:7], v28 offset:16
	s_waitcnt lgkmcnt(1)
	global_store_dword v[9:10], v0, off
	global_store_dword v[9:10], v1, off offset:1024
	global_store_dword v[9:10], v2, off offset:2048
	;; [unrolled: 1-line block ×3, first 2 shown]
	s_waitcnt lgkmcnt(0)
	global_store_dword v[13:14], v4, off
	global_store_dword v[15:16], v5, off
	global_store_dword v[17:18], v6, off
	global_store_dword v[11:12], v7, off
	s_endpgm
	.section	.rodata,"a",@progbits
	.p2align	6, 0x0
	.amdhsa_kernel _Z16warp_load_kernelILj256ELj8ELj64ELN6hipcub17WarpLoadAlgorithmE3EiEvPT3_S3_
		.amdhsa_group_segment_fixed_size 8192
		.amdhsa_private_segment_fixed_size 0
		.amdhsa_kernarg_size 16
		.amdhsa_user_sgpr_count 6
		.amdhsa_user_sgpr_private_segment_buffer 1
		.amdhsa_user_sgpr_dispatch_ptr 0
		.amdhsa_user_sgpr_queue_ptr 0
		.amdhsa_user_sgpr_kernarg_segment_ptr 1
		.amdhsa_user_sgpr_dispatch_id 0
		.amdhsa_user_sgpr_flat_scratch_init 0
		.amdhsa_user_sgpr_private_segment_size 0
		.amdhsa_uses_dynamic_stack 0
		.amdhsa_system_sgpr_private_segment_wavefront_offset 0
		.amdhsa_system_sgpr_workgroup_id_x 1
		.amdhsa_system_sgpr_workgroup_id_y 0
		.amdhsa_system_sgpr_workgroup_id_z 0
		.amdhsa_system_sgpr_workgroup_info 0
		.amdhsa_system_vgpr_workitem_id 0
		.amdhsa_next_free_vgpr 30
		.amdhsa_next_free_sgpr 61
		.amdhsa_reserve_vcc 1
		.amdhsa_reserve_flat_scratch 0
		.amdhsa_float_round_mode_32 0
		.amdhsa_float_round_mode_16_64 0
		.amdhsa_float_denorm_mode_32 3
		.amdhsa_float_denorm_mode_16_64 3
		.amdhsa_dx10_clamp 1
		.amdhsa_ieee_mode 1
		.amdhsa_fp16_overflow 0
		.amdhsa_exception_fp_ieee_invalid_op 0
		.amdhsa_exception_fp_denorm_src 0
		.amdhsa_exception_fp_ieee_div_zero 0
		.amdhsa_exception_fp_ieee_overflow 0
		.amdhsa_exception_fp_ieee_underflow 0
		.amdhsa_exception_fp_ieee_inexact 0
		.amdhsa_exception_int_div_zero 0
	.end_amdhsa_kernel
	.section	.text._Z16warp_load_kernelILj256ELj8ELj64ELN6hipcub17WarpLoadAlgorithmE3EiEvPT3_S3_,"axG",@progbits,_Z16warp_load_kernelILj256ELj8ELj64ELN6hipcub17WarpLoadAlgorithmE3EiEvPT3_S3_,comdat
.Lfunc_end44:
	.size	_Z16warp_load_kernelILj256ELj8ELj64ELN6hipcub17WarpLoadAlgorithmE3EiEvPT3_S3_, .Lfunc_end44-_Z16warp_load_kernelILj256ELj8ELj64ELN6hipcub17WarpLoadAlgorithmE3EiEvPT3_S3_
                                        ; -- End function
	.set _Z16warp_load_kernelILj256ELj8ELj64ELN6hipcub17WarpLoadAlgorithmE3EiEvPT3_S3_.num_vgpr, 30
	.set _Z16warp_load_kernelILj256ELj8ELj64ELN6hipcub17WarpLoadAlgorithmE3EiEvPT3_S3_.num_agpr, 0
	.set _Z16warp_load_kernelILj256ELj8ELj64ELN6hipcub17WarpLoadAlgorithmE3EiEvPT3_S3_.numbered_sgpr, 7
	.set _Z16warp_load_kernelILj256ELj8ELj64ELN6hipcub17WarpLoadAlgorithmE3EiEvPT3_S3_.num_named_barrier, 0
	.set _Z16warp_load_kernelILj256ELj8ELj64ELN6hipcub17WarpLoadAlgorithmE3EiEvPT3_S3_.private_seg_size, 0
	.set _Z16warp_load_kernelILj256ELj8ELj64ELN6hipcub17WarpLoadAlgorithmE3EiEvPT3_S3_.uses_vcc, 1
	.set _Z16warp_load_kernelILj256ELj8ELj64ELN6hipcub17WarpLoadAlgorithmE3EiEvPT3_S3_.uses_flat_scratch, 0
	.set _Z16warp_load_kernelILj256ELj8ELj64ELN6hipcub17WarpLoadAlgorithmE3EiEvPT3_S3_.has_dyn_sized_stack, 0
	.set _Z16warp_load_kernelILj256ELj8ELj64ELN6hipcub17WarpLoadAlgorithmE3EiEvPT3_S3_.has_recursion, 0
	.set _Z16warp_load_kernelILj256ELj8ELj64ELN6hipcub17WarpLoadAlgorithmE3EiEvPT3_S3_.has_indirect_call, 0
	.section	.AMDGPU.csdata,"",@progbits
; Kernel info:
; codeLenInByte = 464
; TotalNumSgprs: 11
; NumVgprs: 30
; ScratchSize: 0
; MemoryBound: 0
; FloatMode: 240
; IeeeMode: 1
; LDSByteSize: 8192 bytes/workgroup (compile time only)
; SGPRBlocks: 8
; VGPRBlocks: 7
; NumSGPRsForWavesPerEU: 65
; NumVGPRsForWavesPerEU: 30
; Occupancy: 8
; WaveLimiterHint : 1
; COMPUTE_PGM_RSRC2:SCRATCH_EN: 0
; COMPUTE_PGM_RSRC2:USER_SGPR: 6
; COMPUTE_PGM_RSRC2:TRAP_HANDLER: 0
; COMPUTE_PGM_RSRC2:TGID_X_EN: 1
; COMPUTE_PGM_RSRC2:TGID_Y_EN: 0
; COMPUTE_PGM_RSRC2:TGID_Z_EN: 0
; COMPUTE_PGM_RSRC2:TIDIG_COMP_CNT: 0
	.section	.text._Z16warp_load_kernelILj256ELj16ELj64ELN6hipcub17WarpLoadAlgorithmE0EiEvPT3_S3_,"axG",@progbits,_Z16warp_load_kernelILj256ELj16ELj64ELN6hipcub17WarpLoadAlgorithmE0EiEvPT3_S3_,comdat
	.protected	_Z16warp_load_kernelILj256ELj16ELj64ELN6hipcub17WarpLoadAlgorithmE0EiEvPT3_S3_ ; -- Begin function _Z16warp_load_kernelILj256ELj16ELj64ELN6hipcub17WarpLoadAlgorithmE0EiEvPT3_S3_
	.globl	_Z16warp_load_kernelILj256ELj16ELj64ELN6hipcub17WarpLoadAlgorithmE0EiEvPT3_S3_
	.p2align	8
	.type	_Z16warp_load_kernelILj256ELj16ELj64ELN6hipcub17WarpLoadAlgorithmE0EiEvPT3_S3_,@function
_Z16warp_load_kernelILj256ELj16ELj64ELN6hipcub17WarpLoadAlgorithmE0EiEvPT3_S3_: ; @_Z16warp_load_kernelILj256ELj16ELj64ELN6hipcub17WarpLoadAlgorithmE0EiEvPT3_S3_
; %bb.0:
	v_mbcnt_lo_u32_b32 v1, -1, 0
	s_load_dwordx4 s[0:3], s[4:5], 0x0
	v_mbcnt_hi_u32_b32 v3, -1, v1
	v_lshlrev_b32_e32 v1, 4, v0
	s_lshl_b32 s4, s6, 12
	v_and_b32_e32 v1, 0xc00, v1
	v_or_b32_e32 v17, s4, v1
	v_mov_b32_e32 v18, 0
	v_lshlrev_b64 v[1:2], 2, v[17:18]
	s_waitcnt lgkmcnt(0)
	v_mov_b32_e32 v4, s1
	v_add_co_u32_e32 v1, vcc, s0, v1
	v_addc_co_u32_e32 v2, vcc, v4, v2, vcc
	v_lshlrev_b32_e32 v3, 6, v3
	v_add_co_u32_e32 v19, vcc, v1, v3
	v_addc_co_u32_e32 v20, vcc, 0, v2, vcc
	global_load_dwordx4 v[1:4], v[19:20], off
	v_or_b32_e32 v17, s4, v0
	v_lshlrev_b64 v[5:6], 2, v[17:18]
	v_mov_b32_e32 v0, s3
	v_add_co_u32_e32 v21, vcc, s2, v5
	v_addc_co_u32_e32 v22, vcc, v0, v6, vcc
	global_load_dwordx4 v[5:8], v[19:20], off offset:16
	global_load_dwordx4 v[9:12], v[19:20], off offset:32
	;; [unrolled: 1-line block ×3, first 2 shown]
	v_or_b32_e32 v0, 0x400, v17
	v_mov_b32_e32 v20, v18
	v_or_b32_e32 v19, 0x600, v17
	v_lshlrev_b64 v[19:20], 2, v[19:20]
	s_waitcnt vmcnt(3)
	global_store_dword v[21:22], v1, off
	global_store_dword v[21:22], v2, off offset:1024
	global_store_dword v[21:22], v3, off offset:2048
	;; [unrolled: 1-line block ×3, first 2 shown]
	v_mov_b32_e32 v1, v18
	v_lshlrev_b64 v[0:1], 2, v[0:1]
	v_mov_b32_e32 v2, s3
	v_add_co_u32_e32 v0, vcc, s2, v0
	v_addc_co_u32_e32 v1, vcc, v2, v1, vcc
	v_mov_b32_e32 v3, v18
	v_or_b32_e32 v2, 0x500, v17
	v_lshlrev_b64 v[2:3], 2, v[2:3]
	v_mov_b32_e32 v4, s3
	v_add_co_u32_e32 v2, vcc, s2, v2
	v_addc_co_u32_e32 v3, vcc, v4, v3, vcc
	v_mov_b32_e32 v22, v18
	v_or_b32_e32 v21, 0x700, v17
	v_add_co_u32_e32 v19, vcc, s2, v19
	v_lshlrev_b64 v[21:22], 2, v[21:22]
	v_addc_co_u32_e32 v20, vcc, v4, v20, vcc
	v_add_co_u32_e32 v21, vcc, s2, v21
	v_addc_co_u32_e32 v22, vcc, v4, v22, vcc
	s_waitcnt vmcnt(6)
	global_store_dword v[0:1], v5, off
	global_store_dword v[2:3], v6, off
	;; [unrolled: 1-line block ×4, first 2 shown]
	v_mov_b32_e32 v1, v18
	v_or_b32_e32 v0, 0x800, v17
	v_lshlrev_b64 v[0:1], 2, v[0:1]
	v_mov_b32_e32 v2, s3
	v_add_co_u32_e32 v0, vcc, s2, v0
	v_addc_co_u32_e32 v1, vcc, v2, v1, vcc
	v_mov_b32_e32 v3, v18
	v_or_b32_e32 v2, 0x900, v17
	v_lshlrev_b64 v[2:3], 2, v[2:3]
	v_mov_b32_e32 v5, v18
	v_add_co_u32_e32 v2, vcc, s2, v2
	v_addc_co_u32_e32 v3, vcc, v4, v3, vcc
	v_or_b32_e32 v4, 0xa00, v17
	v_lshlrev_b64 v[4:5], 2, v[4:5]
	v_mov_b32_e32 v6, s3
	v_add_co_u32_e32 v4, vcc, s2, v4
	v_addc_co_u32_e32 v5, vcc, v6, v5, vcc
	v_or_b32_e32 v6, 0xb00, v17
	v_mov_b32_e32 v7, v18
	v_lshlrev_b64 v[6:7], 2, v[6:7]
	v_mov_b32_e32 v8, s3
	v_add_co_u32_e32 v6, vcc, s2, v6
	v_addc_co_u32_e32 v7, vcc, v8, v7, vcc
	s_waitcnt vmcnt(9)
	global_store_dword v[0:1], v9, off
	global_store_dword v[2:3], v10, off
	;; [unrolled: 1-line block ×4, first 2 shown]
	v_or_b32_e32 v0, 0xc00, v17
	v_mov_b32_e32 v1, v18
	v_lshlrev_b64 v[0:1], 2, v[0:1]
	v_mov_b32_e32 v2, s3
	v_add_co_u32_e32 v0, vcc, s2, v0
	v_addc_co_u32_e32 v1, vcc, v2, v1, vcc
	s_waitcnt vmcnt(12)
	global_store_dword v[0:1], v13, off
	v_or_b32_e32 v0, 0xd00, v17
	v_mov_b32_e32 v1, v18
	v_lshlrev_b64 v[0:1], 2, v[0:1]
	v_add_co_u32_e32 v0, vcc, s2, v0
	v_addc_co_u32_e32 v1, vcc, v2, v1, vcc
	global_store_dword v[0:1], v14, off
	v_or_b32_e32 v0, 0xe00, v17
	v_mov_b32_e32 v1, v18
	v_lshlrev_b64 v[0:1], 2, v[0:1]
	v_or_b32_e32 v17, 0xf00, v17
	v_add_co_u32_e32 v0, vcc, s2, v0
	v_addc_co_u32_e32 v1, vcc, v2, v1, vcc
	global_store_dword v[0:1], v15, off
	v_lshlrev_b64 v[0:1], 2, v[17:18]
	v_add_co_u32_e32 v0, vcc, s2, v0
	v_addc_co_u32_e32 v1, vcc, v2, v1, vcc
	global_store_dword v[0:1], v16, off
	s_endpgm
	.section	.rodata,"a",@progbits
	.p2align	6, 0x0
	.amdhsa_kernel _Z16warp_load_kernelILj256ELj16ELj64ELN6hipcub17WarpLoadAlgorithmE0EiEvPT3_S3_
		.amdhsa_group_segment_fixed_size 0
		.amdhsa_private_segment_fixed_size 0
		.amdhsa_kernarg_size 16
		.amdhsa_user_sgpr_count 6
		.amdhsa_user_sgpr_private_segment_buffer 1
		.amdhsa_user_sgpr_dispatch_ptr 0
		.amdhsa_user_sgpr_queue_ptr 0
		.amdhsa_user_sgpr_kernarg_segment_ptr 1
		.amdhsa_user_sgpr_dispatch_id 0
		.amdhsa_user_sgpr_flat_scratch_init 0
		.amdhsa_user_sgpr_private_segment_size 0
		.amdhsa_uses_dynamic_stack 0
		.amdhsa_system_sgpr_private_segment_wavefront_offset 0
		.amdhsa_system_sgpr_workgroup_id_x 1
		.amdhsa_system_sgpr_workgroup_id_y 0
		.amdhsa_system_sgpr_workgroup_id_z 0
		.amdhsa_system_sgpr_workgroup_info 0
		.amdhsa_system_vgpr_workitem_id 0
		.amdhsa_next_free_vgpr 23
		.amdhsa_next_free_sgpr 7
		.amdhsa_reserve_vcc 1
		.amdhsa_reserve_flat_scratch 0
		.amdhsa_float_round_mode_32 0
		.amdhsa_float_round_mode_16_64 0
		.amdhsa_float_denorm_mode_32 3
		.amdhsa_float_denorm_mode_16_64 3
		.amdhsa_dx10_clamp 1
		.amdhsa_ieee_mode 1
		.amdhsa_fp16_overflow 0
		.amdhsa_exception_fp_ieee_invalid_op 0
		.amdhsa_exception_fp_denorm_src 0
		.amdhsa_exception_fp_ieee_div_zero 0
		.amdhsa_exception_fp_ieee_overflow 0
		.amdhsa_exception_fp_ieee_underflow 0
		.amdhsa_exception_fp_ieee_inexact 0
		.amdhsa_exception_int_div_zero 0
	.end_amdhsa_kernel
	.section	.text._Z16warp_load_kernelILj256ELj16ELj64ELN6hipcub17WarpLoadAlgorithmE0EiEvPT3_S3_,"axG",@progbits,_Z16warp_load_kernelILj256ELj16ELj64ELN6hipcub17WarpLoadAlgorithmE0EiEvPT3_S3_,comdat
.Lfunc_end45:
	.size	_Z16warp_load_kernelILj256ELj16ELj64ELN6hipcub17WarpLoadAlgorithmE0EiEvPT3_S3_, .Lfunc_end45-_Z16warp_load_kernelILj256ELj16ELj64ELN6hipcub17WarpLoadAlgorithmE0EiEvPT3_S3_
                                        ; -- End function
	.set _Z16warp_load_kernelILj256ELj16ELj64ELN6hipcub17WarpLoadAlgorithmE0EiEvPT3_S3_.num_vgpr, 23
	.set _Z16warp_load_kernelILj256ELj16ELj64ELN6hipcub17WarpLoadAlgorithmE0EiEvPT3_S3_.num_agpr, 0
	.set _Z16warp_load_kernelILj256ELj16ELj64ELN6hipcub17WarpLoadAlgorithmE0EiEvPT3_S3_.numbered_sgpr, 7
	.set _Z16warp_load_kernelILj256ELj16ELj64ELN6hipcub17WarpLoadAlgorithmE0EiEvPT3_S3_.num_named_barrier, 0
	.set _Z16warp_load_kernelILj256ELj16ELj64ELN6hipcub17WarpLoadAlgorithmE0EiEvPT3_S3_.private_seg_size, 0
	.set _Z16warp_load_kernelILj256ELj16ELj64ELN6hipcub17WarpLoadAlgorithmE0EiEvPT3_S3_.uses_vcc, 1
	.set _Z16warp_load_kernelILj256ELj16ELj64ELN6hipcub17WarpLoadAlgorithmE0EiEvPT3_S3_.uses_flat_scratch, 0
	.set _Z16warp_load_kernelILj256ELj16ELj64ELN6hipcub17WarpLoadAlgorithmE0EiEvPT3_S3_.has_dyn_sized_stack, 0
	.set _Z16warp_load_kernelILj256ELj16ELj64ELN6hipcub17WarpLoadAlgorithmE0EiEvPT3_S3_.has_recursion, 0
	.set _Z16warp_load_kernelILj256ELj16ELj64ELN6hipcub17WarpLoadAlgorithmE0EiEvPT3_S3_.has_indirect_call, 0
	.section	.AMDGPU.csdata,"",@progbits
; Kernel info:
; codeLenInByte = 644
; TotalNumSgprs: 11
; NumVgprs: 23
; ScratchSize: 0
; MemoryBound: 0
; FloatMode: 240
; IeeeMode: 1
; LDSByteSize: 0 bytes/workgroup (compile time only)
; SGPRBlocks: 1
; VGPRBlocks: 5
; NumSGPRsForWavesPerEU: 11
; NumVGPRsForWavesPerEU: 23
; Occupancy: 10
; WaveLimiterHint : 1
; COMPUTE_PGM_RSRC2:SCRATCH_EN: 0
; COMPUTE_PGM_RSRC2:USER_SGPR: 6
; COMPUTE_PGM_RSRC2:TRAP_HANDLER: 0
; COMPUTE_PGM_RSRC2:TGID_X_EN: 1
; COMPUTE_PGM_RSRC2:TGID_Y_EN: 0
; COMPUTE_PGM_RSRC2:TGID_Z_EN: 0
; COMPUTE_PGM_RSRC2:TIDIG_COMP_CNT: 0
	.section	.text._Z16warp_load_kernelILj256ELj16ELj64ELN6hipcub17WarpLoadAlgorithmE1EiEvPT3_S3_,"axG",@progbits,_Z16warp_load_kernelILj256ELj16ELj64ELN6hipcub17WarpLoadAlgorithmE1EiEvPT3_S3_,comdat
	.protected	_Z16warp_load_kernelILj256ELj16ELj64ELN6hipcub17WarpLoadAlgorithmE1EiEvPT3_S3_ ; -- Begin function _Z16warp_load_kernelILj256ELj16ELj64ELN6hipcub17WarpLoadAlgorithmE1EiEvPT3_S3_
	.globl	_Z16warp_load_kernelILj256ELj16ELj64ELN6hipcub17WarpLoadAlgorithmE1EiEvPT3_S3_
	.p2align	8
	.type	_Z16warp_load_kernelILj256ELj16ELj64ELN6hipcub17WarpLoadAlgorithmE1EiEvPT3_S3_,@function
_Z16warp_load_kernelILj256ELj16ELj64ELN6hipcub17WarpLoadAlgorithmE1EiEvPT3_S3_: ; @_Z16warp_load_kernelILj256ELj16ELj64ELN6hipcub17WarpLoadAlgorithmE1EiEvPT3_S3_
; %bb.0:
	v_mbcnt_lo_u32_b32 v1, -1, 0
	s_load_dwordx4 s[0:3], s[4:5], 0x0
	v_mbcnt_hi_u32_b32 v5, -1, v1
	v_lshlrev_b32_e32 v1, 4, v0
	s_lshl_b32 s4, s6, 12
	v_and_b32_e32 v1, 0xc00, v1
	v_or_b32_e32 v1, s4, v1
	v_mov_b32_e32 v2, 0
	v_lshlrev_b64 v[3:4], 2, v[1:2]
	s_waitcnt lgkmcnt(0)
	v_mov_b32_e32 v1, s1
	v_add_co_u32_e32 v3, vcc, s0, v3
	v_addc_co_u32_e32 v1, vcc, v1, v4, vcc
	v_lshlrev_b32_e32 v4, 2, v5
	v_add_co_u32_e32 v3, vcc, v3, v4
	v_lshlrev_b32_e32 v4, 6, v5
	v_addc_co_u32_e32 v1, vcc, 0, v1, vcc
	v_and_b32_e32 v4, 0x1000, v4
	v_add_co_u32_e32 v3, vcc, v3, v4
	v_addc_co_u32_e32 v4, vcc, 0, v1, vcc
	v_or_b32_e32 v1, s4, v0
	v_lshlrev_b64 v[5:6], 2, v[1:2]
	v_mov_b32_e32 v0, s3
	v_add_co_u32_e32 v5, vcc, s2, v5
	v_addc_co_u32_e32 v6, vcc, v0, v6, vcc
	global_load_dword v0, v[3:4], off
	global_load_dword v15, v[3:4], off offset:256
	global_load_dword v16, v[3:4], off offset:512
	;; [unrolled: 1-line block ×10, first 2 shown]
	v_or_b32_e32 v7, 0x400, v1
	v_mov_b32_e32 v8, v2
	v_lshlrev_b64 v[7:8], 2, v[7:8]
	v_mov_b32_e32 v9, s3
	v_add_co_u32_e32 v7, vcc, s2, v7
	v_addc_co_u32_e32 v8, vcc, v9, v8, vcc
	v_or_b32_e32 v9, 0x500, v1
	v_mov_b32_e32 v10, v2
	v_lshlrev_b64 v[9:10], 2, v[9:10]
	v_mov_b32_e32 v11, s3
	v_add_co_u32_e32 v9, vcc, s2, v9
	v_addc_co_u32_e32 v10, vcc, v11, v10, vcc
	;; [unrolled: 6-line block ×4, first 2 shown]
	global_load_dword v25, v[3:4], off offset:2816
	global_load_dword v26, v[3:4], off offset:3072
	;; [unrolled: 1-line block ×5, first 2 shown]
	v_or_b32_e32 v3, 0x800, v1
	v_mov_b32_e32 v4, v2
	v_lshlrev_b64 v[3:4], 2, v[3:4]
	s_waitcnt vmcnt(15)
	global_store_dword v[5:6], v0, off
	s_waitcnt vmcnt(15)
	global_store_dword v[5:6], v15, off offset:1024
	s_waitcnt vmcnt(15)
	global_store_dword v[5:6], v16, off offset:2048
	;; [unrolled: 2-line block ×3, first 2 shown]
	s_waitcnt vmcnt(15)
	global_store_dword v[7:8], v18, off
	s_waitcnt vmcnt(15)
	global_store_dword v[9:10], v19, off
	;; [unrolled: 2-line block ×4, first 2 shown]
	v_mov_b32_e32 v0, s3
	v_add_co_u32_e32 v3, vcc, s2, v3
	v_addc_co_u32_e32 v4, vcc, v0, v4, vcc
	s_waitcnt vmcnt(15)
	global_store_dword v[3:4], v22, off
	v_or_b32_e32 v3, 0x900, v1
	v_mov_b32_e32 v4, v2
	v_lshlrev_b64 v[3:4], 2, v[3:4]
	v_add_co_u32_e32 v3, vcc, s2, v3
	v_addc_co_u32_e32 v4, vcc, v0, v4, vcc
	s_waitcnt vmcnt(15)
	global_store_dword v[3:4], v23, off
	v_or_b32_e32 v3, 0xa00, v1
	v_mov_b32_e32 v4, v2
	v_lshlrev_b64 v[3:4], 2, v[3:4]
	;; [unrolled: 7-line block ×6, first 2 shown]
	v_or_b32_e32 v1, 0xf00, v1
	v_add_co_u32_e32 v3, vcc, s2, v3
	v_addc_co_u32_e32 v4, vcc, v0, v4, vcc
	v_lshlrev_b64 v[0:1], 2, v[1:2]
	v_mov_b32_e32 v2, s3
	v_add_co_u32_e32 v0, vcc, s2, v0
	v_addc_co_u32_e32 v1, vcc, v2, v1, vcc
	s_waitcnt vmcnt(15)
	global_store_dword v[3:4], v28, off
	s_waitcnt vmcnt(15)
	global_store_dword v[0:1], v29, off
	s_endpgm
	.section	.rodata,"a",@progbits
	.p2align	6, 0x0
	.amdhsa_kernel _Z16warp_load_kernelILj256ELj16ELj64ELN6hipcub17WarpLoadAlgorithmE1EiEvPT3_S3_
		.amdhsa_group_segment_fixed_size 0
		.amdhsa_private_segment_fixed_size 0
		.amdhsa_kernarg_size 16
		.amdhsa_user_sgpr_count 6
		.amdhsa_user_sgpr_private_segment_buffer 1
		.amdhsa_user_sgpr_dispatch_ptr 0
		.amdhsa_user_sgpr_queue_ptr 0
		.amdhsa_user_sgpr_kernarg_segment_ptr 1
		.amdhsa_user_sgpr_dispatch_id 0
		.amdhsa_user_sgpr_flat_scratch_init 0
		.amdhsa_user_sgpr_private_segment_size 0
		.amdhsa_uses_dynamic_stack 0
		.amdhsa_system_sgpr_private_segment_wavefront_offset 0
		.amdhsa_system_sgpr_workgroup_id_x 1
		.amdhsa_system_sgpr_workgroup_id_y 0
		.amdhsa_system_sgpr_workgroup_id_z 0
		.amdhsa_system_sgpr_workgroup_info 0
		.amdhsa_system_vgpr_workitem_id 0
		.amdhsa_next_free_vgpr 30
		.amdhsa_next_free_sgpr 7
		.amdhsa_reserve_vcc 1
		.amdhsa_reserve_flat_scratch 0
		.amdhsa_float_round_mode_32 0
		.amdhsa_float_round_mode_16_64 0
		.amdhsa_float_denorm_mode_32 3
		.amdhsa_float_denorm_mode_16_64 3
		.amdhsa_dx10_clamp 1
		.amdhsa_ieee_mode 1
		.amdhsa_fp16_overflow 0
		.amdhsa_exception_fp_ieee_invalid_op 0
		.amdhsa_exception_fp_denorm_src 0
		.amdhsa_exception_fp_ieee_div_zero 0
		.amdhsa_exception_fp_ieee_overflow 0
		.amdhsa_exception_fp_ieee_underflow 0
		.amdhsa_exception_fp_ieee_inexact 0
		.amdhsa_exception_int_div_zero 0
	.end_amdhsa_kernel
	.section	.text._Z16warp_load_kernelILj256ELj16ELj64ELN6hipcub17WarpLoadAlgorithmE1EiEvPT3_S3_,"axG",@progbits,_Z16warp_load_kernelILj256ELj16ELj64ELN6hipcub17WarpLoadAlgorithmE1EiEvPT3_S3_,comdat
.Lfunc_end46:
	.size	_Z16warp_load_kernelILj256ELj16ELj64ELN6hipcub17WarpLoadAlgorithmE1EiEvPT3_S3_, .Lfunc_end46-_Z16warp_load_kernelILj256ELj16ELj64ELN6hipcub17WarpLoadAlgorithmE1EiEvPT3_S3_
                                        ; -- End function
	.set _Z16warp_load_kernelILj256ELj16ELj64ELN6hipcub17WarpLoadAlgorithmE1EiEvPT3_S3_.num_vgpr, 30
	.set _Z16warp_load_kernelILj256ELj16ELj64ELN6hipcub17WarpLoadAlgorithmE1EiEvPT3_S3_.num_agpr, 0
	.set _Z16warp_load_kernelILj256ELj16ELj64ELN6hipcub17WarpLoadAlgorithmE1EiEvPT3_S3_.numbered_sgpr, 7
	.set _Z16warp_load_kernelILj256ELj16ELj64ELN6hipcub17WarpLoadAlgorithmE1EiEvPT3_S3_.num_named_barrier, 0
	.set _Z16warp_load_kernelILj256ELj16ELj64ELN6hipcub17WarpLoadAlgorithmE1EiEvPT3_S3_.private_seg_size, 0
	.set _Z16warp_load_kernelILj256ELj16ELj64ELN6hipcub17WarpLoadAlgorithmE1EiEvPT3_S3_.uses_vcc, 1
	.set _Z16warp_load_kernelILj256ELj16ELj64ELN6hipcub17WarpLoadAlgorithmE1EiEvPT3_S3_.uses_flat_scratch, 0
	.set _Z16warp_load_kernelILj256ELj16ELj64ELN6hipcub17WarpLoadAlgorithmE1EiEvPT3_S3_.has_dyn_sized_stack, 0
	.set _Z16warp_load_kernelILj256ELj16ELj64ELN6hipcub17WarpLoadAlgorithmE1EiEvPT3_S3_.has_recursion, 0
	.set _Z16warp_load_kernelILj256ELj16ELj64ELN6hipcub17WarpLoadAlgorithmE1EiEvPT3_S3_.has_indirect_call, 0
	.section	.AMDGPU.csdata,"",@progbits
; Kernel info:
; codeLenInByte = 808
; TotalNumSgprs: 11
; NumVgprs: 30
; ScratchSize: 0
; MemoryBound: 0
; FloatMode: 240
; IeeeMode: 1
; LDSByteSize: 0 bytes/workgroup (compile time only)
; SGPRBlocks: 1
; VGPRBlocks: 7
; NumSGPRsForWavesPerEU: 11
; NumVGPRsForWavesPerEU: 30
; Occupancy: 8
; WaveLimiterHint : 1
; COMPUTE_PGM_RSRC2:SCRATCH_EN: 0
; COMPUTE_PGM_RSRC2:USER_SGPR: 6
; COMPUTE_PGM_RSRC2:TRAP_HANDLER: 0
; COMPUTE_PGM_RSRC2:TGID_X_EN: 1
; COMPUTE_PGM_RSRC2:TGID_Y_EN: 0
; COMPUTE_PGM_RSRC2:TGID_Z_EN: 0
; COMPUTE_PGM_RSRC2:TIDIG_COMP_CNT: 0
	.section	.text._Z16warp_load_kernelILj256ELj16ELj64ELN6hipcub17WarpLoadAlgorithmE2EiEvPT3_S3_,"axG",@progbits,_Z16warp_load_kernelILj256ELj16ELj64ELN6hipcub17WarpLoadAlgorithmE2EiEvPT3_S3_,comdat
	.protected	_Z16warp_load_kernelILj256ELj16ELj64ELN6hipcub17WarpLoadAlgorithmE2EiEvPT3_S3_ ; -- Begin function _Z16warp_load_kernelILj256ELj16ELj64ELN6hipcub17WarpLoadAlgorithmE2EiEvPT3_S3_
	.globl	_Z16warp_load_kernelILj256ELj16ELj64ELN6hipcub17WarpLoadAlgorithmE2EiEvPT3_S3_
	.p2align	8
	.type	_Z16warp_load_kernelILj256ELj16ELj64ELN6hipcub17WarpLoadAlgorithmE2EiEvPT3_S3_,@function
_Z16warp_load_kernelILj256ELj16ELj64ELN6hipcub17WarpLoadAlgorithmE2EiEvPT3_S3_: ; @_Z16warp_load_kernelILj256ELj16ELj64ELN6hipcub17WarpLoadAlgorithmE2EiEvPT3_S3_
; %bb.0:
	v_mbcnt_lo_u32_b32 v1, -1, 0
	s_load_dwordx4 s[0:3], s[4:5], 0x0
	v_mbcnt_hi_u32_b32 v3, -1, v1
	v_lshlrev_b32_e32 v1, 4, v0
	s_lshl_b32 s4, s6, 12
	v_and_b32_e32 v1, 0xc00, v1
	v_or_b32_e32 v17, s4, v1
	v_mov_b32_e32 v18, 0
	v_lshlrev_b64 v[1:2], 2, v[17:18]
	s_waitcnt lgkmcnt(0)
	v_mov_b32_e32 v4, s1
	v_add_co_u32_e32 v1, vcc, s0, v1
	v_addc_co_u32_e32 v2, vcc, v4, v2, vcc
	v_lshlrev_b32_e32 v3, 6, v3
	v_add_co_u32_e32 v19, vcc, v1, v3
	v_addc_co_u32_e32 v20, vcc, 0, v2, vcc
	global_load_dwordx4 v[1:4], v[19:20], off
	v_or_b32_e32 v17, s4, v0
	v_lshlrev_b64 v[5:6], 2, v[17:18]
	v_mov_b32_e32 v0, s3
	v_add_co_u32_e32 v21, vcc, s2, v5
	v_addc_co_u32_e32 v22, vcc, v0, v6, vcc
	global_load_dwordx4 v[5:8], v[19:20], off offset:16
	global_load_dwordx4 v[9:12], v[19:20], off offset:32
	;; [unrolled: 1-line block ×3, first 2 shown]
	v_or_b32_e32 v0, 0x400, v17
	v_mov_b32_e32 v20, v18
	v_or_b32_e32 v19, 0x600, v17
	v_lshlrev_b64 v[19:20], 2, v[19:20]
	s_waitcnt vmcnt(3)
	global_store_dword v[21:22], v1, off
	global_store_dword v[21:22], v2, off offset:1024
	global_store_dword v[21:22], v3, off offset:2048
	;; [unrolled: 1-line block ×3, first 2 shown]
	v_mov_b32_e32 v1, v18
	v_lshlrev_b64 v[0:1], 2, v[0:1]
	v_mov_b32_e32 v2, s3
	v_add_co_u32_e32 v0, vcc, s2, v0
	v_addc_co_u32_e32 v1, vcc, v2, v1, vcc
	v_mov_b32_e32 v3, v18
	v_or_b32_e32 v2, 0x500, v17
	v_lshlrev_b64 v[2:3], 2, v[2:3]
	v_mov_b32_e32 v4, s3
	v_add_co_u32_e32 v2, vcc, s2, v2
	v_addc_co_u32_e32 v3, vcc, v4, v3, vcc
	v_mov_b32_e32 v22, v18
	v_or_b32_e32 v21, 0x700, v17
	v_add_co_u32_e32 v19, vcc, s2, v19
	v_lshlrev_b64 v[21:22], 2, v[21:22]
	v_addc_co_u32_e32 v20, vcc, v4, v20, vcc
	v_add_co_u32_e32 v21, vcc, s2, v21
	v_addc_co_u32_e32 v22, vcc, v4, v22, vcc
	s_waitcnt vmcnt(6)
	global_store_dword v[0:1], v5, off
	global_store_dword v[2:3], v6, off
	;; [unrolled: 1-line block ×4, first 2 shown]
	v_mov_b32_e32 v1, v18
	v_or_b32_e32 v0, 0x800, v17
	v_lshlrev_b64 v[0:1], 2, v[0:1]
	v_mov_b32_e32 v2, s3
	v_add_co_u32_e32 v0, vcc, s2, v0
	v_addc_co_u32_e32 v1, vcc, v2, v1, vcc
	v_mov_b32_e32 v3, v18
	v_or_b32_e32 v2, 0x900, v17
	v_lshlrev_b64 v[2:3], 2, v[2:3]
	v_mov_b32_e32 v5, v18
	v_add_co_u32_e32 v2, vcc, s2, v2
	v_addc_co_u32_e32 v3, vcc, v4, v3, vcc
	v_or_b32_e32 v4, 0xa00, v17
	v_lshlrev_b64 v[4:5], 2, v[4:5]
	v_mov_b32_e32 v6, s3
	v_add_co_u32_e32 v4, vcc, s2, v4
	v_addc_co_u32_e32 v5, vcc, v6, v5, vcc
	v_or_b32_e32 v6, 0xb00, v17
	v_mov_b32_e32 v7, v18
	v_lshlrev_b64 v[6:7], 2, v[6:7]
	v_mov_b32_e32 v8, s3
	v_add_co_u32_e32 v6, vcc, s2, v6
	v_addc_co_u32_e32 v7, vcc, v8, v7, vcc
	s_waitcnt vmcnt(9)
	global_store_dword v[0:1], v9, off
	global_store_dword v[2:3], v10, off
	;; [unrolled: 1-line block ×4, first 2 shown]
	v_or_b32_e32 v0, 0xc00, v17
	v_mov_b32_e32 v1, v18
	v_lshlrev_b64 v[0:1], 2, v[0:1]
	v_mov_b32_e32 v2, s3
	v_add_co_u32_e32 v0, vcc, s2, v0
	v_addc_co_u32_e32 v1, vcc, v2, v1, vcc
	s_waitcnt vmcnt(12)
	global_store_dword v[0:1], v13, off
	v_or_b32_e32 v0, 0xd00, v17
	v_mov_b32_e32 v1, v18
	v_lshlrev_b64 v[0:1], 2, v[0:1]
	v_add_co_u32_e32 v0, vcc, s2, v0
	v_addc_co_u32_e32 v1, vcc, v2, v1, vcc
	global_store_dword v[0:1], v14, off
	v_or_b32_e32 v0, 0xe00, v17
	v_mov_b32_e32 v1, v18
	v_lshlrev_b64 v[0:1], 2, v[0:1]
	v_or_b32_e32 v17, 0xf00, v17
	v_add_co_u32_e32 v0, vcc, s2, v0
	v_addc_co_u32_e32 v1, vcc, v2, v1, vcc
	global_store_dword v[0:1], v15, off
	v_lshlrev_b64 v[0:1], 2, v[17:18]
	v_add_co_u32_e32 v0, vcc, s2, v0
	v_addc_co_u32_e32 v1, vcc, v2, v1, vcc
	global_store_dword v[0:1], v16, off
	s_endpgm
	.section	.rodata,"a",@progbits
	.p2align	6, 0x0
	.amdhsa_kernel _Z16warp_load_kernelILj256ELj16ELj64ELN6hipcub17WarpLoadAlgorithmE2EiEvPT3_S3_
		.amdhsa_group_segment_fixed_size 0
		.amdhsa_private_segment_fixed_size 0
		.amdhsa_kernarg_size 16
		.amdhsa_user_sgpr_count 6
		.amdhsa_user_sgpr_private_segment_buffer 1
		.amdhsa_user_sgpr_dispatch_ptr 0
		.amdhsa_user_sgpr_queue_ptr 0
		.amdhsa_user_sgpr_kernarg_segment_ptr 1
		.amdhsa_user_sgpr_dispatch_id 0
		.amdhsa_user_sgpr_flat_scratch_init 0
		.amdhsa_user_sgpr_private_segment_size 0
		.amdhsa_uses_dynamic_stack 0
		.amdhsa_system_sgpr_private_segment_wavefront_offset 0
		.amdhsa_system_sgpr_workgroup_id_x 1
		.amdhsa_system_sgpr_workgroup_id_y 0
		.amdhsa_system_sgpr_workgroup_id_z 0
		.amdhsa_system_sgpr_workgroup_info 0
		.amdhsa_system_vgpr_workitem_id 0
		.amdhsa_next_free_vgpr 23
		.amdhsa_next_free_sgpr 7
		.amdhsa_reserve_vcc 1
		.amdhsa_reserve_flat_scratch 0
		.amdhsa_float_round_mode_32 0
		.amdhsa_float_round_mode_16_64 0
		.amdhsa_float_denorm_mode_32 3
		.amdhsa_float_denorm_mode_16_64 3
		.amdhsa_dx10_clamp 1
		.amdhsa_ieee_mode 1
		.amdhsa_fp16_overflow 0
		.amdhsa_exception_fp_ieee_invalid_op 0
		.amdhsa_exception_fp_denorm_src 0
		.amdhsa_exception_fp_ieee_div_zero 0
		.amdhsa_exception_fp_ieee_overflow 0
		.amdhsa_exception_fp_ieee_underflow 0
		.amdhsa_exception_fp_ieee_inexact 0
		.amdhsa_exception_int_div_zero 0
	.end_amdhsa_kernel
	.section	.text._Z16warp_load_kernelILj256ELj16ELj64ELN6hipcub17WarpLoadAlgorithmE2EiEvPT3_S3_,"axG",@progbits,_Z16warp_load_kernelILj256ELj16ELj64ELN6hipcub17WarpLoadAlgorithmE2EiEvPT3_S3_,comdat
.Lfunc_end47:
	.size	_Z16warp_load_kernelILj256ELj16ELj64ELN6hipcub17WarpLoadAlgorithmE2EiEvPT3_S3_, .Lfunc_end47-_Z16warp_load_kernelILj256ELj16ELj64ELN6hipcub17WarpLoadAlgorithmE2EiEvPT3_S3_
                                        ; -- End function
	.set _Z16warp_load_kernelILj256ELj16ELj64ELN6hipcub17WarpLoadAlgorithmE2EiEvPT3_S3_.num_vgpr, 23
	.set _Z16warp_load_kernelILj256ELj16ELj64ELN6hipcub17WarpLoadAlgorithmE2EiEvPT3_S3_.num_agpr, 0
	.set _Z16warp_load_kernelILj256ELj16ELj64ELN6hipcub17WarpLoadAlgorithmE2EiEvPT3_S3_.numbered_sgpr, 7
	.set _Z16warp_load_kernelILj256ELj16ELj64ELN6hipcub17WarpLoadAlgorithmE2EiEvPT3_S3_.num_named_barrier, 0
	.set _Z16warp_load_kernelILj256ELj16ELj64ELN6hipcub17WarpLoadAlgorithmE2EiEvPT3_S3_.private_seg_size, 0
	.set _Z16warp_load_kernelILj256ELj16ELj64ELN6hipcub17WarpLoadAlgorithmE2EiEvPT3_S3_.uses_vcc, 1
	.set _Z16warp_load_kernelILj256ELj16ELj64ELN6hipcub17WarpLoadAlgorithmE2EiEvPT3_S3_.uses_flat_scratch, 0
	.set _Z16warp_load_kernelILj256ELj16ELj64ELN6hipcub17WarpLoadAlgorithmE2EiEvPT3_S3_.has_dyn_sized_stack, 0
	.set _Z16warp_load_kernelILj256ELj16ELj64ELN6hipcub17WarpLoadAlgorithmE2EiEvPT3_S3_.has_recursion, 0
	.set _Z16warp_load_kernelILj256ELj16ELj64ELN6hipcub17WarpLoadAlgorithmE2EiEvPT3_S3_.has_indirect_call, 0
	.section	.AMDGPU.csdata,"",@progbits
; Kernel info:
; codeLenInByte = 644
; TotalNumSgprs: 11
; NumVgprs: 23
; ScratchSize: 0
; MemoryBound: 0
; FloatMode: 240
; IeeeMode: 1
; LDSByteSize: 0 bytes/workgroup (compile time only)
; SGPRBlocks: 1
; VGPRBlocks: 5
; NumSGPRsForWavesPerEU: 11
; NumVGPRsForWavesPerEU: 23
; Occupancy: 10
; WaveLimiterHint : 1
; COMPUTE_PGM_RSRC2:SCRATCH_EN: 0
; COMPUTE_PGM_RSRC2:USER_SGPR: 6
; COMPUTE_PGM_RSRC2:TRAP_HANDLER: 0
; COMPUTE_PGM_RSRC2:TGID_X_EN: 1
; COMPUTE_PGM_RSRC2:TGID_Y_EN: 0
; COMPUTE_PGM_RSRC2:TGID_Z_EN: 0
; COMPUTE_PGM_RSRC2:TIDIG_COMP_CNT: 0
	.section	.text._Z16warp_load_kernelILj256ELj16ELj64ELN6hipcub17WarpLoadAlgorithmE3EiEvPT3_S3_,"axG",@progbits,_Z16warp_load_kernelILj256ELj16ELj64ELN6hipcub17WarpLoadAlgorithmE3EiEvPT3_S3_,comdat
	.protected	_Z16warp_load_kernelILj256ELj16ELj64ELN6hipcub17WarpLoadAlgorithmE3EiEvPT3_S3_ ; -- Begin function _Z16warp_load_kernelILj256ELj16ELj64ELN6hipcub17WarpLoadAlgorithmE3EiEvPT3_S3_
	.globl	_Z16warp_load_kernelILj256ELj16ELj64ELN6hipcub17WarpLoadAlgorithmE3EiEvPT3_S3_
	.p2align	8
	.type	_Z16warp_load_kernelILj256ELj16ELj64ELN6hipcub17WarpLoadAlgorithmE3EiEvPT3_S3_,@function
_Z16warp_load_kernelILj256ELj16ELj64ELN6hipcub17WarpLoadAlgorithmE3EiEvPT3_S3_: ; @_Z16warp_load_kernelILj256ELj16ELj64ELN6hipcub17WarpLoadAlgorithmE3EiEvPT3_S3_
; %bb.0:
	s_load_dwordx4 s[0:3], s[4:5], 0x0
	v_lshrrev_b32_e32 v4, 6, v0
	s_lshl_b32 s4, s6, 12
	v_mbcnt_lo_u32_b32 v1, -1, 0
	v_lshl_or_b32 v16, v4, 10, s4
	v_mov_b32_e32 v17, 0
	v_mbcnt_hi_u32_b32 v3, -1, v1
	v_lshlrev_b64 v[1:2], 2, v[16:17]
	s_waitcnt lgkmcnt(0)
	v_mov_b32_e32 v5, s1
	v_add_co_u32_e32 v1, vcc, s0, v1
	v_addc_co_u32_e32 v2, vcc, v5, v2, vcc
	v_lshlrev_b32_e32 v6, 2, v3
	v_add_co_u32_e32 v1, vcc, v1, v6
	v_lshlrev_b32_e32 v7, 6, v3
	v_addc_co_u32_e32 v2, vcc, 0, v2, vcc
	v_and_b32_e32 v3, 0x1000, v7
	v_add_co_u32_e32 v1, vcc, v1, v3
	v_addc_co_u32_e32 v2, vcc, 0, v2, vcc
	global_load_dword v10, v[1:2], off
	global_load_dword v11, v[1:2], off offset:256
	global_load_dword v12, v[1:2], off offset:512
	;; [unrolled: 1-line block ×15, first 2 shown]
	v_lshlrev_b32_e32 v2, 12, v4
	v_or_b32_e32 v16, s4, v0
	v_or_b32_e32 v34, v2, v6
	v_add_u32_e32 v35, v2, v7
	v_lshlrev_b64 v[6:7], 2, v[16:17]
	v_mov_b32_e32 v1, v17
	v_mov_b32_e32 v3, v17
	v_or_b32_e32 v0, 0x400, v16
	v_or_b32_e32 v2, 0x500, v16
	v_lshlrev_b64 v[0:1], 2, v[0:1]
	v_lshlrev_b64 v[8:9], 2, v[2:3]
	v_mov_b32_e32 v2, s3
	v_add_co_u32_e32 v20, vcc, s2, v6
	v_addc_co_u32_e32 v21, vcc, v2, v7, vcc
	v_mov_b32_e32 v3, s3
	v_add_co_u32_e32 v22, vcc, s2, v0
	v_mov_b32_e32 v5, v17
	v_or_b32_e32 v4, 0x600, v16
	v_addc_co_u32_e32 v23, vcc, v3, v1, vcc
	v_lshlrev_b64 v[18:19], 2, v[4:5]
	v_mov_b32_e32 v4, s3
	v_mov_b32_e32 v36, s3
	s_waitcnt vmcnt(14)
	ds_write2st64_b32 v34, v10, v11 offset1:1
	s_waitcnt vmcnt(12)
	ds_write2st64_b32 v34, v12, v13 offset0:2 offset1:3
	s_waitcnt vmcnt(10)
	ds_write2st64_b32 v34, v14, v15 offset0:4 offset1:5
	;; [unrolled: 2-line block ×7, first 2 shown]
	; wave barrier
	ds_read_b128 v[0:3], v35
	v_add_co_u32_e32 v24, vcc, s2, v8
	v_addc_co_u32_e32 v25, vcc, v4, v9, vcc
	ds_read_b128 v[4:7], v35 offset:16
	ds_read_b128 v[8:11], v35 offset:32
	;; [unrolled: 1-line block ×3, first 2 shown]
	s_waitcnt lgkmcnt(3)
	global_store_dword v[20:21], v0, off
	global_store_dword v[20:21], v1, off offset:1024
	global_store_dword v[20:21], v2, off offset:2048
	;; [unrolled: 1-line block ×3, first 2 shown]
	s_waitcnt lgkmcnt(2)
	global_store_dword v[22:23], v4, off
	global_store_dword v[24:25], v5, off
	v_add_co_u32_e32 v0, vcc, s2, v18
	v_addc_co_u32_e32 v1, vcc, v36, v19, vcc
	global_store_dword v[0:1], v6, off
	v_or_b32_e32 v0, 0x700, v16
	v_mov_b32_e32 v1, v17
	v_lshlrev_b64 v[0:1], 2, v[0:1]
	v_mov_b32_e32 v2, s3
	v_add_co_u32_e32 v0, vcc, s2, v0
	v_addc_co_u32_e32 v1, vcc, v2, v1, vcc
	global_store_dword v[0:1], v7, off
	v_or_b32_e32 v0, 0x800, v16
	v_mov_b32_e32 v1, v17
	v_lshlrev_b64 v[0:1], 2, v[0:1]
	v_add_co_u32_e32 v0, vcc, s2, v0
	v_addc_co_u32_e32 v1, vcc, v2, v1, vcc
	s_waitcnt lgkmcnt(1)
	global_store_dword v[0:1], v8, off
	v_or_b32_e32 v0, 0x900, v16
	v_mov_b32_e32 v1, v17
	v_lshlrev_b64 v[0:1], 2, v[0:1]
	v_add_co_u32_e32 v0, vcc, s2, v0
	v_addc_co_u32_e32 v1, vcc, v2, v1, vcc
	global_store_dword v[0:1], v9, off
	v_or_b32_e32 v0, 0xa00, v16
	v_mov_b32_e32 v1, v17
	v_lshlrev_b64 v[0:1], 2, v[0:1]
	v_add_co_u32_e32 v0, vcc, s2, v0
	v_addc_co_u32_e32 v1, vcc, v2, v1, vcc
	;; [unrolled: 6-line block ×4, first 2 shown]
	s_waitcnt lgkmcnt(0)
	global_store_dword v[0:1], v12, off
	v_or_b32_e32 v0, 0xd00, v16
	v_mov_b32_e32 v1, v17
	v_lshlrev_b64 v[0:1], 2, v[0:1]
	v_add_co_u32_e32 v0, vcc, s2, v0
	v_addc_co_u32_e32 v1, vcc, v2, v1, vcc
	global_store_dword v[0:1], v13, off
	v_or_b32_e32 v0, 0xe00, v16
	v_mov_b32_e32 v1, v17
	v_lshlrev_b64 v[0:1], 2, v[0:1]
	v_or_b32_e32 v16, 0xf00, v16
	v_add_co_u32_e32 v0, vcc, s2, v0
	v_addc_co_u32_e32 v1, vcc, v2, v1, vcc
	global_store_dword v[0:1], v14, off
	v_lshlrev_b64 v[0:1], 2, v[16:17]
	v_add_co_u32_e32 v0, vcc, s2, v0
	v_addc_co_u32_e32 v1, vcc, v2, v1, vcc
	global_store_dword v[0:1], v15, off
	s_endpgm
	.section	.rodata,"a",@progbits
	.p2align	6, 0x0
	.amdhsa_kernel _Z16warp_load_kernelILj256ELj16ELj64ELN6hipcub17WarpLoadAlgorithmE3EiEvPT3_S3_
		.amdhsa_group_segment_fixed_size 16384
		.amdhsa_private_segment_fixed_size 0
		.amdhsa_kernarg_size 16
		.amdhsa_user_sgpr_count 6
		.amdhsa_user_sgpr_private_segment_buffer 1
		.amdhsa_user_sgpr_dispatch_ptr 0
		.amdhsa_user_sgpr_queue_ptr 0
		.amdhsa_user_sgpr_kernarg_segment_ptr 1
		.amdhsa_user_sgpr_dispatch_id 0
		.amdhsa_user_sgpr_flat_scratch_init 0
		.amdhsa_user_sgpr_private_segment_size 0
		.amdhsa_uses_dynamic_stack 0
		.amdhsa_system_sgpr_private_segment_wavefront_offset 0
		.amdhsa_system_sgpr_workgroup_id_x 1
		.amdhsa_system_sgpr_workgroup_id_y 0
		.amdhsa_system_sgpr_workgroup_id_z 0
		.amdhsa_system_sgpr_workgroup_info 0
		.amdhsa_system_vgpr_workitem_id 0
		.amdhsa_next_free_vgpr 49
		.amdhsa_next_free_sgpr 98
		.amdhsa_reserve_vcc 1
		.amdhsa_reserve_flat_scratch 0
		.amdhsa_float_round_mode_32 0
		.amdhsa_float_round_mode_16_64 0
		.amdhsa_float_denorm_mode_32 3
		.amdhsa_float_denorm_mode_16_64 3
		.amdhsa_dx10_clamp 1
		.amdhsa_ieee_mode 1
		.amdhsa_fp16_overflow 0
		.amdhsa_exception_fp_ieee_invalid_op 0
		.amdhsa_exception_fp_denorm_src 0
		.amdhsa_exception_fp_ieee_div_zero 0
		.amdhsa_exception_fp_ieee_overflow 0
		.amdhsa_exception_fp_ieee_underflow 0
		.amdhsa_exception_fp_ieee_inexact 0
		.amdhsa_exception_int_div_zero 0
	.end_amdhsa_kernel
	.section	.text._Z16warp_load_kernelILj256ELj16ELj64ELN6hipcub17WarpLoadAlgorithmE3EiEvPT3_S3_,"axG",@progbits,_Z16warp_load_kernelILj256ELj16ELj64ELN6hipcub17WarpLoadAlgorithmE3EiEvPT3_S3_,comdat
.Lfunc_end48:
	.size	_Z16warp_load_kernelILj256ELj16ELj64ELN6hipcub17WarpLoadAlgorithmE3EiEvPT3_S3_, .Lfunc_end48-_Z16warp_load_kernelILj256ELj16ELj64ELN6hipcub17WarpLoadAlgorithmE3EiEvPT3_S3_
                                        ; -- End function
	.set _Z16warp_load_kernelILj256ELj16ELj64ELN6hipcub17WarpLoadAlgorithmE3EiEvPT3_S3_.num_vgpr, 37
	.set _Z16warp_load_kernelILj256ELj16ELj64ELN6hipcub17WarpLoadAlgorithmE3EiEvPT3_S3_.num_agpr, 0
	.set _Z16warp_load_kernelILj256ELj16ELj64ELN6hipcub17WarpLoadAlgorithmE3EiEvPT3_S3_.numbered_sgpr, 7
	.set _Z16warp_load_kernelILj256ELj16ELj64ELN6hipcub17WarpLoadAlgorithmE3EiEvPT3_S3_.num_named_barrier, 0
	.set _Z16warp_load_kernelILj256ELj16ELj64ELN6hipcub17WarpLoadAlgorithmE3EiEvPT3_S3_.private_seg_size, 0
	.set _Z16warp_load_kernelILj256ELj16ELj64ELN6hipcub17WarpLoadAlgorithmE3EiEvPT3_S3_.uses_vcc, 1
	.set _Z16warp_load_kernelILj256ELj16ELj64ELN6hipcub17WarpLoadAlgorithmE3EiEvPT3_S3_.uses_flat_scratch, 0
	.set _Z16warp_load_kernelILj256ELj16ELj64ELN6hipcub17WarpLoadAlgorithmE3EiEvPT3_S3_.has_dyn_sized_stack, 0
	.set _Z16warp_load_kernelILj256ELj16ELj64ELN6hipcub17WarpLoadAlgorithmE3EiEvPT3_S3_.has_recursion, 0
	.set _Z16warp_load_kernelILj256ELj16ELj64ELN6hipcub17WarpLoadAlgorithmE3EiEvPT3_S3_.has_indirect_call, 0
	.section	.AMDGPU.csdata,"",@progbits
; Kernel info:
; codeLenInByte = 888
; TotalNumSgprs: 11
; NumVgprs: 37
; ScratchSize: 0
; MemoryBound: 1
; FloatMode: 240
; IeeeMode: 1
; LDSByteSize: 16384 bytes/workgroup (compile time only)
; SGPRBlocks: 12
; VGPRBlocks: 12
; NumSGPRsForWavesPerEU: 102
; NumVGPRsForWavesPerEU: 49
; Occupancy: 4
; WaveLimiterHint : 1
; COMPUTE_PGM_RSRC2:SCRATCH_EN: 0
; COMPUTE_PGM_RSRC2:USER_SGPR: 6
; COMPUTE_PGM_RSRC2:TRAP_HANDLER: 0
; COMPUTE_PGM_RSRC2:TGID_X_EN: 1
; COMPUTE_PGM_RSRC2:TGID_Y_EN: 0
; COMPUTE_PGM_RSRC2:TGID_Z_EN: 0
; COMPUTE_PGM_RSRC2:TIDIG_COMP_CNT: 0
	.section	.text._Z16warp_load_kernelILj256ELj32ELj64ELN6hipcub17WarpLoadAlgorithmE0EiEvPT3_S3_,"axG",@progbits,_Z16warp_load_kernelILj256ELj32ELj64ELN6hipcub17WarpLoadAlgorithmE0EiEvPT3_S3_,comdat
	.protected	_Z16warp_load_kernelILj256ELj32ELj64ELN6hipcub17WarpLoadAlgorithmE0EiEvPT3_S3_ ; -- Begin function _Z16warp_load_kernelILj256ELj32ELj64ELN6hipcub17WarpLoadAlgorithmE0EiEvPT3_S3_
	.globl	_Z16warp_load_kernelILj256ELj32ELj64ELN6hipcub17WarpLoadAlgorithmE0EiEvPT3_S3_
	.p2align	8
	.type	_Z16warp_load_kernelILj256ELj32ELj64ELN6hipcub17WarpLoadAlgorithmE0EiEvPT3_S3_,@function
_Z16warp_load_kernelILj256ELj32ELj64ELN6hipcub17WarpLoadAlgorithmE0EiEvPT3_S3_: ; @_Z16warp_load_kernelILj256ELj32ELj64ELN6hipcub17WarpLoadAlgorithmE0EiEvPT3_S3_
; %bb.0:
	v_mbcnt_lo_u32_b32 v1, -1, 0
	s_load_dwordx4 s[0:3], s[4:5], 0x0
	v_mbcnt_hi_u32_b32 v3, -1, v1
	v_lshlrev_b32_e32 v1, 5, v0
	s_lshl_b32 s4, s6, 13
	v_and_b32_e32 v1, 0x1800, v1
	v_or_b32_e32 v33, s4, v1
	v_mov_b32_e32 v34, 0
	v_lshlrev_b64 v[1:2], 2, v[33:34]
	s_waitcnt lgkmcnt(0)
	v_mov_b32_e32 v4, s1
	v_add_co_u32_e32 v1, vcc, s0, v1
	v_addc_co_u32_e32 v2, vcc, v4, v2, vcc
	v_lshlrev_b32_e32 v3, 7, v3
	v_add_co_u32_e32 v35, vcc, v1, v3
	v_addc_co_u32_e32 v36, vcc, 0, v2, vcc
	global_load_dwordx4 v[1:4], v[35:36], off
	global_load_dwordx4 v[5:8], v[35:36], off offset:16
	global_load_dwordx4 v[9:12], v[35:36], off offset:32
	v_or_b32_e32 v33, s4, v0
	v_lshlrev_b64 v[13:14], 2, v[33:34]
	v_mov_b32_e32 v0, s3
	v_add_co_u32_e32 v37, vcc, s2, v13
	v_addc_co_u32_e32 v38, vcc, v0, v14, vcc
	global_load_dwordx4 v[13:16], v[35:36], off offset:48
	global_load_dwordx4 v[17:20], v[35:36], off offset:112
	;; [unrolled: 1-line block ×5, first 2 shown]
	v_or_b32_e32 v0, 0x400, v33
	v_mov_b32_e32 v36, v34
	v_or_b32_e32 v35, 0x600, v33
	v_lshlrev_b64 v[35:36], 2, v[35:36]
	s_waitcnt vmcnt(7)
	global_store_dword v[37:38], v1, off
	global_store_dword v[37:38], v2, off offset:1024
	global_store_dword v[37:38], v3, off offset:2048
	;; [unrolled: 1-line block ×3, first 2 shown]
	v_mov_b32_e32 v1, v34
	v_lshlrev_b64 v[0:1], 2, v[0:1]
	v_mov_b32_e32 v2, s3
	v_add_co_u32_e32 v0, vcc, s2, v0
	v_addc_co_u32_e32 v1, vcc, v2, v1, vcc
	v_mov_b32_e32 v3, v34
	v_or_b32_e32 v2, 0x500, v33
	v_lshlrev_b64 v[2:3], 2, v[2:3]
	v_mov_b32_e32 v4, s3
	v_add_co_u32_e32 v2, vcc, s2, v2
	v_addc_co_u32_e32 v3, vcc, v4, v3, vcc
	v_mov_b32_e32 v38, v34
	v_or_b32_e32 v37, 0x700, v33
	v_add_co_u32_e32 v35, vcc, s2, v35
	v_lshlrev_b64 v[37:38], 2, v[37:38]
	v_addc_co_u32_e32 v36, vcc, v4, v36, vcc
	s_waitcnt vmcnt(10)
	global_store_dword v[0:1], v5, off
	global_store_dword v[2:3], v6, off
	v_mov_b32_e32 v1, v34
	v_or_b32_e32 v0, 0x800, v33
	v_add_co_u32_e32 v37, vcc, s2, v37
	v_lshlrev_b64 v[0:1], 2, v[0:1]
	v_addc_co_u32_e32 v38, vcc, v4, v38, vcc
	v_mov_b32_e32 v3, v34
	v_or_b32_e32 v2, 0x900, v33
	v_lshlrev_b64 v[2:3], 2, v[2:3]
	v_add_co_u32_e32 v0, vcc, s2, v0
	v_addc_co_u32_e32 v1, vcc, v4, v1, vcc
	v_mov_b32_e32 v5, s3
	v_add_co_u32_e32 v2, vcc, s2, v2
	v_addc_co_u32_e32 v3, vcc, v5, v3, vcc
	v_or_b32_e32 v4, 0xa00, v33
	v_mov_b32_e32 v5, v34
	v_lshlrev_b64 v[4:5], 2, v[4:5]
	v_mov_b32_e32 v6, s3
	v_add_co_u32_e32 v4, vcc, s2, v4
	global_store_dword v[35:36], v7, off
	v_addc_co_u32_e32 v5, vcc, v6, v5, vcc
	v_or_b32_e32 v6, 0xb00, v33
	v_mov_b32_e32 v7, v34
	v_lshlrev_b64 v[6:7], 2, v[6:7]
	global_store_dword v[37:38], v8, off
	v_mov_b32_e32 v8, s3
	v_add_co_u32_e32 v6, vcc, s2, v6
	v_addc_co_u32_e32 v7, vcc, v8, v7, vcc
	s_waitcnt vmcnt(13)
	global_store_dword v[0:1], v9, off
	global_store_dword v[2:3], v10, off
	;; [unrolled: 1-line block ×4, first 2 shown]
	v_or_b32_e32 v0, 0xc00, v33
	v_mov_b32_e32 v1, v34
	v_lshlrev_b64 v[0:1], 2, v[0:1]
	v_mov_b32_e32 v2, s3
	v_add_co_u32_e32 v0, vcc, s2, v0
	v_addc_co_u32_e32 v1, vcc, v2, v1, vcc
	v_or_b32_e32 v2, 0xd00, v33
	v_mov_b32_e32 v3, v34
	v_lshlrev_b64 v[2:3], 2, v[2:3]
	v_mov_b32_e32 v4, s3
	v_add_co_u32_e32 v2, vcc, s2, v2
	v_addc_co_u32_e32 v3, vcc, v4, v3, vcc
	;; [unrolled: 6-line block ×3, first 2 shown]
	v_or_b32_e32 v6, 0xf00, v33
	v_mov_b32_e32 v7, v34
	v_lshlrev_b64 v[6:7], 2, v[6:7]
	v_add_co_u32_e32 v6, vcc, s2, v6
	v_addc_co_u32_e32 v7, vcc, v8, v7, vcc
	s_waitcnt vmcnt(16)
	global_store_dword v[0:1], v13, off
	global_store_dword v[2:3], v14, off
	;; [unrolled: 1-line block ×4, first 2 shown]
	v_or_b32_e32 v0, 0x1000, v33
	v_mov_b32_e32 v1, v34
	v_lshlrev_b64 v[0:1], 2, v[0:1]
	v_mov_b32_e32 v2, s3
	v_add_co_u32_e32 v0, vcc, s2, v0
	v_addc_co_u32_e32 v1, vcc, v2, v1, vcc
	v_or_b32_e32 v2, 0x1100, v33
	v_mov_b32_e32 v3, v34
	v_lshlrev_b64 v[2:3], 2, v[2:3]
	v_mov_b32_e32 v4, s3
	v_add_co_u32_e32 v2, vcc, s2, v2
	v_addc_co_u32_e32 v3, vcc, v4, v3, vcc
	;; [unrolled: 6-line block ×3, first 2 shown]
	v_or_b32_e32 v6, 0x1300, v33
	v_mov_b32_e32 v7, v34
	v_lshlrev_b64 v[6:7], 2, v[6:7]
	v_add_co_u32_e32 v6, vcc, s2, v6
	v_addc_co_u32_e32 v7, vcc, v8, v7, vcc
	s_waitcnt vmcnt(16)
	global_store_dword v[0:1], v29, off
	global_store_dword v[2:3], v30, off
	;; [unrolled: 1-line block ×4, first 2 shown]
	v_or_b32_e32 v0, 0x1400, v33
	v_mov_b32_e32 v1, v34
	v_lshlrev_b64 v[0:1], 2, v[0:1]
	v_mov_b32_e32 v2, s3
	v_add_co_u32_e32 v0, vcc, s2, v0
	v_addc_co_u32_e32 v1, vcc, v2, v1, vcc
	global_store_dword v[0:1], v25, off
	v_or_b32_e32 v0, 0x1500, v33
	v_mov_b32_e32 v1, v34
	v_lshlrev_b64 v[0:1], 2, v[0:1]
	v_add_co_u32_e32 v0, vcc, s2, v0
	v_addc_co_u32_e32 v1, vcc, v2, v1, vcc
	global_store_dword v[0:1], v26, off
	v_or_b32_e32 v0, 0x1600, v33
	v_mov_b32_e32 v1, v34
	v_lshlrev_b64 v[0:1], 2, v[0:1]
	;; [unrolled: 6-line block ×10, first 2 shown]
	v_or_b32_e32 v33, 0x1f00, v33
	v_add_co_u32_e32 v0, vcc, s2, v0
	v_addc_co_u32_e32 v1, vcc, v2, v1, vcc
	global_store_dword v[0:1], v19, off
	v_lshlrev_b64 v[0:1], 2, v[33:34]
	v_add_co_u32_e32 v0, vcc, s2, v0
	v_addc_co_u32_e32 v1, vcc, v2, v1, vcc
	global_store_dword v[0:1], v20, off
	s_endpgm
	.section	.rodata,"a",@progbits
	.p2align	6, 0x0
	.amdhsa_kernel _Z16warp_load_kernelILj256ELj32ELj64ELN6hipcub17WarpLoadAlgorithmE0EiEvPT3_S3_
		.amdhsa_group_segment_fixed_size 0
		.amdhsa_private_segment_fixed_size 0
		.amdhsa_kernarg_size 16
		.amdhsa_user_sgpr_count 6
		.amdhsa_user_sgpr_private_segment_buffer 1
		.amdhsa_user_sgpr_dispatch_ptr 0
		.amdhsa_user_sgpr_queue_ptr 0
		.amdhsa_user_sgpr_kernarg_segment_ptr 1
		.amdhsa_user_sgpr_dispatch_id 0
		.amdhsa_user_sgpr_flat_scratch_init 0
		.amdhsa_user_sgpr_private_segment_size 0
		.amdhsa_uses_dynamic_stack 0
		.amdhsa_system_sgpr_private_segment_wavefront_offset 0
		.amdhsa_system_sgpr_workgroup_id_x 1
		.amdhsa_system_sgpr_workgroup_id_y 0
		.amdhsa_system_sgpr_workgroup_id_z 0
		.amdhsa_system_sgpr_workgroup_info 0
		.amdhsa_system_vgpr_workitem_id 0
		.amdhsa_next_free_vgpr 39
		.amdhsa_next_free_sgpr 7
		.amdhsa_reserve_vcc 1
		.amdhsa_reserve_flat_scratch 0
		.amdhsa_float_round_mode_32 0
		.amdhsa_float_round_mode_16_64 0
		.amdhsa_float_denorm_mode_32 3
		.amdhsa_float_denorm_mode_16_64 3
		.amdhsa_dx10_clamp 1
		.amdhsa_ieee_mode 1
		.amdhsa_fp16_overflow 0
		.amdhsa_exception_fp_ieee_invalid_op 0
		.amdhsa_exception_fp_denorm_src 0
		.amdhsa_exception_fp_ieee_div_zero 0
		.amdhsa_exception_fp_ieee_overflow 0
		.amdhsa_exception_fp_ieee_underflow 0
		.amdhsa_exception_fp_ieee_inexact 0
		.amdhsa_exception_int_div_zero 0
	.end_amdhsa_kernel
	.section	.text._Z16warp_load_kernelILj256ELj32ELj64ELN6hipcub17WarpLoadAlgorithmE0EiEvPT3_S3_,"axG",@progbits,_Z16warp_load_kernelILj256ELj32ELj64ELN6hipcub17WarpLoadAlgorithmE0EiEvPT3_S3_,comdat
.Lfunc_end49:
	.size	_Z16warp_load_kernelILj256ELj32ELj64ELN6hipcub17WarpLoadAlgorithmE0EiEvPT3_S3_, .Lfunc_end49-_Z16warp_load_kernelILj256ELj32ELj64ELN6hipcub17WarpLoadAlgorithmE0EiEvPT3_S3_
                                        ; -- End function
	.set _Z16warp_load_kernelILj256ELj32ELj64ELN6hipcub17WarpLoadAlgorithmE0EiEvPT3_S3_.num_vgpr, 39
	.set _Z16warp_load_kernelILj256ELj32ELj64ELN6hipcub17WarpLoadAlgorithmE0EiEvPT3_S3_.num_agpr, 0
	.set _Z16warp_load_kernelILj256ELj32ELj64ELN6hipcub17WarpLoadAlgorithmE0EiEvPT3_S3_.numbered_sgpr, 7
	.set _Z16warp_load_kernelILj256ELj32ELj64ELN6hipcub17WarpLoadAlgorithmE0EiEvPT3_S3_.num_named_barrier, 0
	.set _Z16warp_load_kernelILj256ELj32ELj64ELN6hipcub17WarpLoadAlgorithmE0EiEvPT3_S3_.private_seg_size, 0
	.set _Z16warp_load_kernelILj256ELj32ELj64ELN6hipcub17WarpLoadAlgorithmE0EiEvPT3_S3_.uses_vcc, 1
	.set _Z16warp_load_kernelILj256ELj32ELj64ELN6hipcub17WarpLoadAlgorithmE0EiEvPT3_S3_.uses_flat_scratch, 0
	.set _Z16warp_load_kernelILj256ELj32ELj64ELN6hipcub17WarpLoadAlgorithmE0EiEvPT3_S3_.has_dyn_sized_stack, 0
	.set _Z16warp_load_kernelILj256ELj32ELj64ELN6hipcub17WarpLoadAlgorithmE0EiEvPT3_S3_.has_recursion, 0
	.set _Z16warp_load_kernelILj256ELj32ELj64ELN6hipcub17WarpLoadAlgorithmE0EiEvPT3_S3_.has_indirect_call, 0
	.section	.AMDGPU.csdata,"",@progbits
; Kernel info:
; codeLenInByte = 1280
; TotalNumSgprs: 11
; NumVgprs: 39
; ScratchSize: 0
; MemoryBound: 0
; FloatMode: 240
; IeeeMode: 1
; LDSByteSize: 0 bytes/workgroup (compile time only)
; SGPRBlocks: 1
; VGPRBlocks: 9
; NumSGPRsForWavesPerEU: 11
; NumVGPRsForWavesPerEU: 39
; Occupancy: 6
; WaveLimiterHint : 1
; COMPUTE_PGM_RSRC2:SCRATCH_EN: 0
; COMPUTE_PGM_RSRC2:USER_SGPR: 6
; COMPUTE_PGM_RSRC2:TRAP_HANDLER: 0
; COMPUTE_PGM_RSRC2:TGID_X_EN: 1
; COMPUTE_PGM_RSRC2:TGID_Y_EN: 0
; COMPUTE_PGM_RSRC2:TGID_Z_EN: 0
; COMPUTE_PGM_RSRC2:TIDIG_COMP_CNT: 0
	.section	.text._Z16warp_load_kernelILj256ELj32ELj64ELN6hipcub17WarpLoadAlgorithmE1EiEvPT3_S3_,"axG",@progbits,_Z16warp_load_kernelILj256ELj32ELj64ELN6hipcub17WarpLoadAlgorithmE1EiEvPT3_S3_,comdat
	.protected	_Z16warp_load_kernelILj256ELj32ELj64ELN6hipcub17WarpLoadAlgorithmE1EiEvPT3_S3_ ; -- Begin function _Z16warp_load_kernelILj256ELj32ELj64ELN6hipcub17WarpLoadAlgorithmE1EiEvPT3_S3_
	.globl	_Z16warp_load_kernelILj256ELj32ELj64ELN6hipcub17WarpLoadAlgorithmE1EiEvPT3_S3_
	.p2align	8
	.type	_Z16warp_load_kernelILj256ELj32ELj64ELN6hipcub17WarpLoadAlgorithmE1EiEvPT3_S3_,@function
_Z16warp_load_kernelILj256ELj32ELj64ELN6hipcub17WarpLoadAlgorithmE1EiEvPT3_S3_: ; @_Z16warp_load_kernelILj256ELj32ELj64ELN6hipcub17WarpLoadAlgorithmE1EiEvPT3_S3_
; %bb.0:
	v_mbcnt_lo_u32_b32 v1, -1, 0
	s_load_dwordx4 s[0:3], s[4:5], 0x0
	v_mbcnt_hi_u32_b32 v5, -1, v1
	v_lshlrev_b32_e32 v1, 5, v0
	s_lshl_b32 s4, s6, 13
	v_and_b32_e32 v1, 0x1800, v1
	v_or_b32_e32 v1, s4, v1
	v_mov_b32_e32 v2, 0
	v_lshlrev_b64 v[3:4], 2, v[1:2]
	s_waitcnt lgkmcnt(0)
	v_mov_b32_e32 v1, s1
	v_add_co_u32_e32 v3, vcc, s0, v3
	v_addc_co_u32_e32 v1, vcc, v1, v4, vcc
	v_lshlrev_b32_e32 v4, 2, v5
	v_add_co_u32_e32 v3, vcc, v3, v4
	v_lshlrev_b32_e32 v4, 7, v5
	v_addc_co_u32_e32 v1, vcc, 0, v1, vcc
	v_and_b32_e32 v4, 0x2000, v4
	v_add_co_u32_e32 v3, vcc, v3, v4
	v_addc_co_u32_e32 v4, vcc, 0, v1, vcc
	global_load_dword v11, v[3:4], off
	global_load_dword v12, v[3:4], off offset:256
	global_load_dword v13, v[3:4], off offset:512
	;; [unrolled: 1-line block ×7, first 2 shown]
	v_or_b32_e32 v1, s4, v0
	global_load_dword v0, v[3:4], off offset:2048
	global_load_dword v19, v[3:4], off offset:2304
	v_lshlrev_b64 v[7:8], 2, v[1:2]
	v_mov_b32_e32 v6, v2
	v_or_b32_e32 v5, 0x400, v1
	v_mov_b32_e32 v9, s3
	v_lshlrev_b64 v[5:6], 2, v[5:6]
	v_add_co_u32_e32 v7, vcc, s2, v7
	v_addc_co_u32_e32 v8, vcc, v9, v8, vcc
	v_mov_b32_e32 v10, s3
	v_add_co_u32_e32 v5, vcc, s2, v5
	s_movk_i32 s0, 0x1000
	v_addc_co_u32_e32 v6, vcc, v10, v6, vcc
	v_add_co_u32_e32 v9, vcc, s0, v3
	v_addc_co_u32_e32 v10, vcc, 0, v4, vcc
	global_load_dword v20, v[3:4], off offset:2560
	global_load_dword v21, v[3:4], off offset:2816
	;; [unrolled: 1-line block ×6, first 2 shown]
	global_load_dword v26, v[9:10], off
	global_load_dword v27, v[9:10], off offset:256
	global_load_dword v28, v[9:10], off offset:512
	;; [unrolled: 1-line block ×8, first 2 shown]
                                        ; kill: killed $vgpr3 killed $vgpr4
	global_load_dword v35, v[9:10], off offset:2304
	global_load_dword v36, v[9:10], off offset:2560
	;; [unrolled: 1-line block ×7, first 2 shown]
	v_mov_b32_e32 v4, v2
	v_or_b32_e32 v3, 0x500, v1
	v_lshlrev_b64 v[3:4], 2, v[3:4]
	s_waitcnt vmcnt(31)
	global_store_dword v[7:8], v11, off
	s_waitcnt vmcnt(31)
	global_store_dword v[7:8], v12, off offset:1024
	s_waitcnt vmcnt(31)
	global_store_dword v[7:8], v13, off offset:2048
	;; [unrolled: 2-line block ×3, first 2 shown]
	v_mov_b32_e32 v7, s3
	v_add_co_u32_e32 v3, vcc, s2, v3
	v_addc_co_u32_e32 v4, vcc, v7, v4, vcc
	s_waitcnt vmcnt(30)
	global_store_dword v[3:4], v16, off
	v_or_b32_e32 v3, 0x600, v1
	v_mov_b32_e32 v4, v2
	v_lshlrev_b64 v[3:4], 2, v[3:4]
	global_store_dword v[5:6], v15, off
	v_mov_b32_e32 v5, s3
	v_add_co_u32_e32 v3, vcc, s2, v3
	v_addc_co_u32_e32 v4, vcc, v5, v4, vcc
	s_waitcnt vmcnt(31)
	global_store_dword v[3:4], v17, off
	v_or_b32_e32 v3, 0x700, v1
	v_mov_b32_e32 v4, v2
	v_lshlrev_b64 v[3:4], 2, v[3:4]
	v_add_co_u32_e32 v3, vcc, s2, v3
	v_addc_co_u32_e32 v4, vcc, v5, v4, vcc
	s_waitcnt vmcnt(31)
	global_store_dword v[3:4], v18, off
	v_or_b32_e32 v3, 0x800, v1
	v_mov_b32_e32 v4, v2
	v_lshlrev_b64 v[3:4], 2, v[3:4]
	;; [unrolled: 7-line block ×3, first 2 shown]
	v_mov_b32_e32 v0, s3
	v_add_co_u32_e32 v3, vcc, s2, v3
	v_addc_co_u32_e32 v4, vcc, v0, v4, vcc
	s_waitcnt vmcnt(31)
	global_store_dword v[3:4], v19, off
	v_or_b32_e32 v3, 0xa00, v1
	v_mov_b32_e32 v4, v2
	v_lshlrev_b64 v[3:4], 2, v[3:4]
	v_add_co_u32_e32 v3, vcc, s2, v3
	v_addc_co_u32_e32 v4, vcc, v0, v4, vcc
	s_waitcnt vmcnt(31)
	global_store_dword v[3:4], v20, off
	v_or_b32_e32 v3, 0xb00, v1
	v_mov_b32_e32 v4, v2
	v_lshlrev_b64 v[3:4], 2, v[3:4]
	;; [unrolled: 7-line block ×21, first 2 shown]
	v_or_b32_e32 v1, 0x1f00, v1
	v_add_co_u32_e32 v3, vcc, s2, v3
	v_addc_co_u32_e32 v4, vcc, v0, v4, vcc
	v_lshlrev_b64 v[0:1], 2, v[1:2]
	v_mov_b32_e32 v2, s3
	v_add_co_u32_e32 v0, vcc, s2, v0
	v_addc_co_u32_e32 v1, vcc, v2, v1, vcc
	s_waitcnt vmcnt(31)
	global_store_dword v[3:4], v40, off
	s_waitcnt vmcnt(31)
	global_store_dword v[0:1], v41, off
	s_endpgm
	.section	.rodata,"a",@progbits
	.p2align	6, 0x0
	.amdhsa_kernel _Z16warp_load_kernelILj256ELj32ELj64ELN6hipcub17WarpLoadAlgorithmE1EiEvPT3_S3_
		.amdhsa_group_segment_fixed_size 0
		.amdhsa_private_segment_fixed_size 0
		.amdhsa_kernarg_size 16
		.amdhsa_user_sgpr_count 6
		.amdhsa_user_sgpr_private_segment_buffer 1
		.amdhsa_user_sgpr_dispatch_ptr 0
		.amdhsa_user_sgpr_queue_ptr 0
		.amdhsa_user_sgpr_kernarg_segment_ptr 1
		.amdhsa_user_sgpr_dispatch_id 0
		.amdhsa_user_sgpr_flat_scratch_init 0
		.amdhsa_user_sgpr_private_segment_size 0
		.amdhsa_uses_dynamic_stack 0
		.amdhsa_system_sgpr_private_segment_wavefront_offset 0
		.amdhsa_system_sgpr_workgroup_id_x 1
		.amdhsa_system_sgpr_workgroup_id_y 0
		.amdhsa_system_sgpr_workgroup_id_z 0
		.amdhsa_system_sgpr_workgroup_info 0
		.amdhsa_system_vgpr_workitem_id 0
		.amdhsa_next_free_vgpr 42
		.amdhsa_next_free_sgpr 7
		.amdhsa_reserve_vcc 1
		.amdhsa_reserve_flat_scratch 0
		.amdhsa_float_round_mode_32 0
		.amdhsa_float_round_mode_16_64 0
		.amdhsa_float_denorm_mode_32 3
		.amdhsa_float_denorm_mode_16_64 3
		.amdhsa_dx10_clamp 1
		.amdhsa_ieee_mode 1
		.amdhsa_fp16_overflow 0
		.amdhsa_exception_fp_ieee_invalid_op 0
		.amdhsa_exception_fp_denorm_src 0
		.amdhsa_exception_fp_ieee_div_zero 0
		.amdhsa_exception_fp_ieee_overflow 0
		.amdhsa_exception_fp_ieee_underflow 0
		.amdhsa_exception_fp_ieee_inexact 0
		.amdhsa_exception_int_div_zero 0
	.end_amdhsa_kernel
	.section	.text._Z16warp_load_kernelILj256ELj32ELj64ELN6hipcub17WarpLoadAlgorithmE1EiEvPT3_S3_,"axG",@progbits,_Z16warp_load_kernelILj256ELj32ELj64ELN6hipcub17WarpLoadAlgorithmE1EiEvPT3_S3_,comdat
.Lfunc_end50:
	.size	_Z16warp_load_kernelILj256ELj32ELj64ELN6hipcub17WarpLoadAlgorithmE1EiEvPT3_S3_, .Lfunc_end50-_Z16warp_load_kernelILj256ELj32ELj64ELN6hipcub17WarpLoadAlgorithmE1EiEvPT3_S3_
                                        ; -- End function
	.set _Z16warp_load_kernelILj256ELj32ELj64ELN6hipcub17WarpLoadAlgorithmE1EiEvPT3_S3_.num_vgpr, 42
	.set _Z16warp_load_kernelILj256ELj32ELj64ELN6hipcub17WarpLoadAlgorithmE1EiEvPT3_S3_.num_agpr, 0
	.set _Z16warp_load_kernelILj256ELj32ELj64ELN6hipcub17WarpLoadAlgorithmE1EiEvPT3_S3_.numbered_sgpr, 7
	.set _Z16warp_load_kernelILj256ELj32ELj64ELN6hipcub17WarpLoadAlgorithmE1EiEvPT3_S3_.num_named_barrier, 0
	.set _Z16warp_load_kernelILj256ELj32ELj64ELN6hipcub17WarpLoadAlgorithmE1EiEvPT3_S3_.private_seg_size, 0
	.set _Z16warp_load_kernelILj256ELj32ELj64ELN6hipcub17WarpLoadAlgorithmE1EiEvPT3_S3_.uses_vcc, 1
	.set _Z16warp_load_kernelILj256ELj32ELj64ELN6hipcub17WarpLoadAlgorithmE1EiEvPT3_S3_.uses_flat_scratch, 0
	.set _Z16warp_load_kernelILj256ELj32ELj64ELN6hipcub17WarpLoadAlgorithmE1EiEvPT3_S3_.has_dyn_sized_stack, 0
	.set _Z16warp_load_kernelILj256ELj32ELj64ELN6hipcub17WarpLoadAlgorithmE1EiEvPT3_S3_.has_recursion, 0
	.set _Z16warp_load_kernelILj256ELj32ELj64ELN6hipcub17WarpLoadAlgorithmE1EiEvPT3_S3_.has_indirect_call, 0
	.section	.AMDGPU.csdata,"",@progbits
; Kernel info:
; codeLenInByte = 1580
; TotalNumSgprs: 11
; NumVgprs: 42
; ScratchSize: 0
; MemoryBound: 0
; FloatMode: 240
; IeeeMode: 1
; LDSByteSize: 0 bytes/workgroup (compile time only)
; SGPRBlocks: 1
; VGPRBlocks: 10
; NumSGPRsForWavesPerEU: 11
; NumVGPRsForWavesPerEU: 42
; Occupancy: 5
; WaveLimiterHint : 1
; COMPUTE_PGM_RSRC2:SCRATCH_EN: 0
; COMPUTE_PGM_RSRC2:USER_SGPR: 6
; COMPUTE_PGM_RSRC2:TRAP_HANDLER: 0
; COMPUTE_PGM_RSRC2:TGID_X_EN: 1
; COMPUTE_PGM_RSRC2:TGID_Y_EN: 0
; COMPUTE_PGM_RSRC2:TGID_Z_EN: 0
; COMPUTE_PGM_RSRC2:TIDIG_COMP_CNT: 0
	.section	.text._Z16warp_load_kernelILj256ELj32ELj64ELN6hipcub17WarpLoadAlgorithmE2EiEvPT3_S3_,"axG",@progbits,_Z16warp_load_kernelILj256ELj32ELj64ELN6hipcub17WarpLoadAlgorithmE2EiEvPT3_S3_,comdat
	.protected	_Z16warp_load_kernelILj256ELj32ELj64ELN6hipcub17WarpLoadAlgorithmE2EiEvPT3_S3_ ; -- Begin function _Z16warp_load_kernelILj256ELj32ELj64ELN6hipcub17WarpLoadAlgorithmE2EiEvPT3_S3_
	.globl	_Z16warp_load_kernelILj256ELj32ELj64ELN6hipcub17WarpLoadAlgorithmE2EiEvPT3_S3_
	.p2align	8
	.type	_Z16warp_load_kernelILj256ELj32ELj64ELN6hipcub17WarpLoadAlgorithmE2EiEvPT3_S3_,@function
_Z16warp_load_kernelILj256ELj32ELj64ELN6hipcub17WarpLoadAlgorithmE2EiEvPT3_S3_: ; @_Z16warp_load_kernelILj256ELj32ELj64ELN6hipcub17WarpLoadAlgorithmE2EiEvPT3_S3_
; %bb.0:
	v_mbcnt_lo_u32_b32 v1, -1, 0
	s_load_dwordx4 s[0:3], s[4:5], 0x0
	v_mbcnt_hi_u32_b32 v3, -1, v1
	v_lshlrev_b32_e32 v1, 5, v0
	s_lshl_b32 s4, s6, 13
	v_and_b32_e32 v1, 0x1800, v1
	v_or_b32_e32 v33, s4, v1
	v_mov_b32_e32 v34, 0
	v_lshlrev_b64 v[1:2], 2, v[33:34]
	s_waitcnt lgkmcnt(0)
	v_mov_b32_e32 v4, s1
	v_add_co_u32_e32 v1, vcc, s0, v1
	v_addc_co_u32_e32 v2, vcc, v4, v2, vcc
	v_lshlrev_b32_e32 v3, 7, v3
	v_add_co_u32_e32 v35, vcc, v1, v3
	v_addc_co_u32_e32 v36, vcc, 0, v2, vcc
	global_load_dwordx4 v[1:4], v[35:36], off
	global_load_dwordx4 v[5:8], v[35:36], off offset:16
	global_load_dwordx4 v[9:12], v[35:36], off offset:32
	v_or_b32_e32 v33, s4, v0
	v_lshlrev_b64 v[13:14], 2, v[33:34]
	v_mov_b32_e32 v0, s3
	v_add_co_u32_e32 v37, vcc, s2, v13
	v_addc_co_u32_e32 v38, vcc, v0, v14, vcc
	global_load_dwordx4 v[13:16], v[35:36], off offset:48
	global_load_dwordx4 v[17:20], v[35:36], off offset:112
	;; [unrolled: 1-line block ×5, first 2 shown]
	v_or_b32_e32 v0, 0x400, v33
	v_mov_b32_e32 v36, v34
	v_or_b32_e32 v35, 0x600, v33
	v_lshlrev_b64 v[35:36], 2, v[35:36]
	s_waitcnt vmcnt(7)
	global_store_dword v[37:38], v1, off
	global_store_dword v[37:38], v2, off offset:1024
	global_store_dword v[37:38], v3, off offset:2048
	;; [unrolled: 1-line block ×3, first 2 shown]
	v_mov_b32_e32 v1, v34
	v_lshlrev_b64 v[0:1], 2, v[0:1]
	v_mov_b32_e32 v2, s3
	v_add_co_u32_e32 v0, vcc, s2, v0
	v_addc_co_u32_e32 v1, vcc, v2, v1, vcc
	v_mov_b32_e32 v3, v34
	v_or_b32_e32 v2, 0x500, v33
	v_lshlrev_b64 v[2:3], 2, v[2:3]
	v_mov_b32_e32 v4, s3
	v_add_co_u32_e32 v2, vcc, s2, v2
	v_addc_co_u32_e32 v3, vcc, v4, v3, vcc
	v_mov_b32_e32 v38, v34
	v_or_b32_e32 v37, 0x700, v33
	v_add_co_u32_e32 v35, vcc, s2, v35
	v_lshlrev_b64 v[37:38], 2, v[37:38]
	v_addc_co_u32_e32 v36, vcc, v4, v36, vcc
	s_waitcnt vmcnt(10)
	global_store_dword v[0:1], v5, off
	global_store_dword v[2:3], v6, off
	v_mov_b32_e32 v1, v34
	v_or_b32_e32 v0, 0x800, v33
	v_add_co_u32_e32 v37, vcc, s2, v37
	v_lshlrev_b64 v[0:1], 2, v[0:1]
	v_addc_co_u32_e32 v38, vcc, v4, v38, vcc
	v_mov_b32_e32 v3, v34
	v_or_b32_e32 v2, 0x900, v33
	v_lshlrev_b64 v[2:3], 2, v[2:3]
	v_add_co_u32_e32 v0, vcc, s2, v0
	v_addc_co_u32_e32 v1, vcc, v4, v1, vcc
	v_mov_b32_e32 v5, s3
	v_add_co_u32_e32 v2, vcc, s2, v2
	v_addc_co_u32_e32 v3, vcc, v5, v3, vcc
	v_or_b32_e32 v4, 0xa00, v33
	v_mov_b32_e32 v5, v34
	v_lshlrev_b64 v[4:5], 2, v[4:5]
	v_mov_b32_e32 v6, s3
	v_add_co_u32_e32 v4, vcc, s2, v4
	global_store_dword v[35:36], v7, off
	v_addc_co_u32_e32 v5, vcc, v6, v5, vcc
	v_or_b32_e32 v6, 0xb00, v33
	v_mov_b32_e32 v7, v34
	v_lshlrev_b64 v[6:7], 2, v[6:7]
	global_store_dword v[37:38], v8, off
	v_mov_b32_e32 v8, s3
	v_add_co_u32_e32 v6, vcc, s2, v6
	v_addc_co_u32_e32 v7, vcc, v8, v7, vcc
	s_waitcnt vmcnt(13)
	global_store_dword v[0:1], v9, off
	global_store_dword v[2:3], v10, off
	;; [unrolled: 1-line block ×4, first 2 shown]
	v_or_b32_e32 v0, 0xc00, v33
	v_mov_b32_e32 v1, v34
	v_lshlrev_b64 v[0:1], 2, v[0:1]
	v_mov_b32_e32 v2, s3
	v_add_co_u32_e32 v0, vcc, s2, v0
	v_addc_co_u32_e32 v1, vcc, v2, v1, vcc
	v_or_b32_e32 v2, 0xd00, v33
	v_mov_b32_e32 v3, v34
	v_lshlrev_b64 v[2:3], 2, v[2:3]
	v_mov_b32_e32 v4, s3
	v_add_co_u32_e32 v2, vcc, s2, v2
	v_addc_co_u32_e32 v3, vcc, v4, v3, vcc
	;; [unrolled: 6-line block ×3, first 2 shown]
	v_or_b32_e32 v6, 0xf00, v33
	v_mov_b32_e32 v7, v34
	v_lshlrev_b64 v[6:7], 2, v[6:7]
	v_add_co_u32_e32 v6, vcc, s2, v6
	v_addc_co_u32_e32 v7, vcc, v8, v7, vcc
	s_waitcnt vmcnt(16)
	global_store_dword v[0:1], v13, off
	global_store_dword v[2:3], v14, off
	;; [unrolled: 1-line block ×4, first 2 shown]
	v_or_b32_e32 v0, 0x1000, v33
	v_mov_b32_e32 v1, v34
	v_lshlrev_b64 v[0:1], 2, v[0:1]
	v_mov_b32_e32 v2, s3
	v_add_co_u32_e32 v0, vcc, s2, v0
	v_addc_co_u32_e32 v1, vcc, v2, v1, vcc
	v_or_b32_e32 v2, 0x1100, v33
	v_mov_b32_e32 v3, v34
	v_lshlrev_b64 v[2:3], 2, v[2:3]
	v_mov_b32_e32 v4, s3
	v_add_co_u32_e32 v2, vcc, s2, v2
	v_addc_co_u32_e32 v3, vcc, v4, v3, vcc
	;; [unrolled: 6-line block ×3, first 2 shown]
	v_or_b32_e32 v6, 0x1300, v33
	v_mov_b32_e32 v7, v34
	v_lshlrev_b64 v[6:7], 2, v[6:7]
	v_add_co_u32_e32 v6, vcc, s2, v6
	v_addc_co_u32_e32 v7, vcc, v8, v7, vcc
	s_waitcnt vmcnt(16)
	global_store_dword v[0:1], v29, off
	global_store_dword v[2:3], v30, off
	;; [unrolled: 1-line block ×4, first 2 shown]
	v_or_b32_e32 v0, 0x1400, v33
	v_mov_b32_e32 v1, v34
	v_lshlrev_b64 v[0:1], 2, v[0:1]
	v_mov_b32_e32 v2, s3
	v_add_co_u32_e32 v0, vcc, s2, v0
	v_addc_co_u32_e32 v1, vcc, v2, v1, vcc
	global_store_dword v[0:1], v25, off
	v_or_b32_e32 v0, 0x1500, v33
	v_mov_b32_e32 v1, v34
	v_lshlrev_b64 v[0:1], 2, v[0:1]
	v_add_co_u32_e32 v0, vcc, s2, v0
	v_addc_co_u32_e32 v1, vcc, v2, v1, vcc
	global_store_dword v[0:1], v26, off
	v_or_b32_e32 v0, 0x1600, v33
	v_mov_b32_e32 v1, v34
	v_lshlrev_b64 v[0:1], 2, v[0:1]
	;; [unrolled: 6-line block ×10, first 2 shown]
	v_or_b32_e32 v33, 0x1f00, v33
	v_add_co_u32_e32 v0, vcc, s2, v0
	v_addc_co_u32_e32 v1, vcc, v2, v1, vcc
	global_store_dword v[0:1], v19, off
	v_lshlrev_b64 v[0:1], 2, v[33:34]
	v_add_co_u32_e32 v0, vcc, s2, v0
	v_addc_co_u32_e32 v1, vcc, v2, v1, vcc
	global_store_dword v[0:1], v20, off
	s_endpgm
	.section	.rodata,"a",@progbits
	.p2align	6, 0x0
	.amdhsa_kernel _Z16warp_load_kernelILj256ELj32ELj64ELN6hipcub17WarpLoadAlgorithmE2EiEvPT3_S3_
		.amdhsa_group_segment_fixed_size 0
		.amdhsa_private_segment_fixed_size 0
		.amdhsa_kernarg_size 16
		.amdhsa_user_sgpr_count 6
		.amdhsa_user_sgpr_private_segment_buffer 1
		.amdhsa_user_sgpr_dispatch_ptr 0
		.amdhsa_user_sgpr_queue_ptr 0
		.amdhsa_user_sgpr_kernarg_segment_ptr 1
		.amdhsa_user_sgpr_dispatch_id 0
		.amdhsa_user_sgpr_flat_scratch_init 0
		.amdhsa_user_sgpr_private_segment_size 0
		.amdhsa_uses_dynamic_stack 0
		.amdhsa_system_sgpr_private_segment_wavefront_offset 0
		.amdhsa_system_sgpr_workgroup_id_x 1
		.amdhsa_system_sgpr_workgroup_id_y 0
		.amdhsa_system_sgpr_workgroup_id_z 0
		.amdhsa_system_sgpr_workgroup_info 0
		.amdhsa_system_vgpr_workitem_id 0
		.amdhsa_next_free_vgpr 39
		.amdhsa_next_free_sgpr 7
		.amdhsa_reserve_vcc 1
		.amdhsa_reserve_flat_scratch 0
		.amdhsa_float_round_mode_32 0
		.amdhsa_float_round_mode_16_64 0
		.amdhsa_float_denorm_mode_32 3
		.amdhsa_float_denorm_mode_16_64 3
		.amdhsa_dx10_clamp 1
		.amdhsa_ieee_mode 1
		.amdhsa_fp16_overflow 0
		.amdhsa_exception_fp_ieee_invalid_op 0
		.amdhsa_exception_fp_denorm_src 0
		.amdhsa_exception_fp_ieee_div_zero 0
		.amdhsa_exception_fp_ieee_overflow 0
		.amdhsa_exception_fp_ieee_underflow 0
		.amdhsa_exception_fp_ieee_inexact 0
		.amdhsa_exception_int_div_zero 0
	.end_amdhsa_kernel
	.section	.text._Z16warp_load_kernelILj256ELj32ELj64ELN6hipcub17WarpLoadAlgorithmE2EiEvPT3_S3_,"axG",@progbits,_Z16warp_load_kernelILj256ELj32ELj64ELN6hipcub17WarpLoadAlgorithmE2EiEvPT3_S3_,comdat
.Lfunc_end51:
	.size	_Z16warp_load_kernelILj256ELj32ELj64ELN6hipcub17WarpLoadAlgorithmE2EiEvPT3_S3_, .Lfunc_end51-_Z16warp_load_kernelILj256ELj32ELj64ELN6hipcub17WarpLoadAlgorithmE2EiEvPT3_S3_
                                        ; -- End function
	.set _Z16warp_load_kernelILj256ELj32ELj64ELN6hipcub17WarpLoadAlgorithmE2EiEvPT3_S3_.num_vgpr, 39
	.set _Z16warp_load_kernelILj256ELj32ELj64ELN6hipcub17WarpLoadAlgorithmE2EiEvPT3_S3_.num_agpr, 0
	.set _Z16warp_load_kernelILj256ELj32ELj64ELN6hipcub17WarpLoadAlgorithmE2EiEvPT3_S3_.numbered_sgpr, 7
	.set _Z16warp_load_kernelILj256ELj32ELj64ELN6hipcub17WarpLoadAlgorithmE2EiEvPT3_S3_.num_named_barrier, 0
	.set _Z16warp_load_kernelILj256ELj32ELj64ELN6hipcub17WarpLoadAlgorithmE2EiEvPT3_S3_.private_seg_size, 0
	.set _Z16warp_load_kernelILj256ELj32ELj64ELN6hipcub17WarpLoadAlgorithmE2EiEvPT3_S3_.uses_vcc, 1
	.set _Z16warp_load_kernelILj256ELj32ELj64ELN6hipcub17WarpLoadAlgorithmE2EiEvPT3_S3_.uses_flat_scratch, 0
	.set _Z16warp_load_kernelILj256ELj32ELj64ELN6hipcub17WarpLoadAlgorithmE2EiEvPT3_S3_.has_dyn_sized_stack, 0
	.set _Z16warp_load_kernelILj256ELj32ELj64ELN6hipcub17WarpLoadAlgorithmE2EiEvPT3_S3_.has_recursion, 0
	.set _Z16warp_load_kernelILj256ELj32ELj64ELN6hipcub17WarpLoadAlgorithmE2EiEvPT3_S3_.has_indirect_call, 0
	.section	.AMDGPU.csdata,"",@progbits
; Kernel info:
; codeLenInByte = 1280
; TotalNumSgprs: 11
; NumVgprs: 39
; ScratchSize: 0
; MemoryBound: 0
; FloatMode: 240
; IeeeMode: 1
; LDSByteSize: 0 bytes/workgroup (compile time only)
; SGPRBlocks: 1
; VGPRBlocks: 9
; NumSGPRsForWavesPerEU: 11
; NumVGPRsForWavesPerEU: 39
; Occupancy: 6
; WaveLimiterHint : 1
; COMPUTE_PGM_RSRC2:SCRATCH_EN: 0
; COMPUTE_PGM_RSRC2:USER_SGPR: 6
; COMPUTE_PGM_RSRC2:TRAP_HANDLER: 0
; COMPUTE_PGM_RSRC2:TGID_X_EN: 1
; COMPUTE_PGM_RSRC2:TGID_Y_EN: 0
; COMPUTE_PGM_RSRC2:TGID_Z_EN: 0
; COMPUTE_PGM_RSRC2:TIDIG_COMP_CNT: 0
	.section	.text._Z16warp_load_kernelILj256ELj32ELj64ELN6hipcub17WarpLoadAlgorithmE3EiEvPT3_S3_,"axG",@progbits,_Z16warp_load_kernelILj256ELj32ELj64ELN6hipcub17WarpLoadAlgorithmE3EiEvPT3_S3_,comdat
	.protected	_Z16warp_load_kernelILj256ELj32ELj64ELN6hipcub17WarpLoadAlgorithmE3EiEvPT3_S3_ ; -- Begin function _Z16warp_load_kernelILj256ELj32ELj64ELN6hipcub17WarpLoadAlgorithmE3EiEvPT3_S3_
	.globl	_Z16warp_load_kernelILj256ELj32ELj64ELN6hipcub17WarpLoadAlgorithmE3EiEvPT3_S3_
	.p2align	8
	.type	_Z16warp_load_kernelILj256ELj32ELj64ELN6hipcub17WarpLoadAlgorithmE3EiEvPT3_S3_,@function
_Z16warp_load_kernelILj256ELj32ELj64ELN6hipcub17WarpLoadAlgorithmE3EiEvPT3_S3_: ; @_Z16warp_load_kernelILj256ELj32ELj64ELN6hipcub17WarpLoadAlgorithmE3EiEvPT3_S3_
; %bb.0:
	s_load_dwordx4 s[0:3], s[4:5], 0x0
	v_lshrrev_b32_e32 v3, 6, v0
	s_lshl_b32 s4, s6, 13
	v_mbcnt_lo_u32_b32 v1, -1, 0
	v_lshl_or_b32 v33, v3, 11, s4
	v_mov_b32_e32 v34, 0
	v_mbcnt_hi_u32_b32 v4, -1, v1
	v_lshlrev_b64 v[1:2], 2, v[33:34]
	s_waitcnt lgkmcnt(0)
	v_mov_b32_e32 v5, s1
	v_add_co_u32_e32 v1, vcc, s0, v1
	v_addc_co_u32_e32 v2, vcc, v5, v2, vcc
	v_lshlrev_b32_e32 v5, 2, v4
	v_add_co_u32_e32 v1, vcc, v1, v5
	v_lshlrev_b32_e32 v4, 7, v4
	v_addc_co_u32_e32 v2, vcc, 0, v2, vcc
	v_and_b32_e32 v6, 0x2000, v4
	v_add_co_u32_e32 v1, vcc, v1, v6
	v_addc_co_u32_e32 v2, vcc, 0, v2, vcc
	s_movk_i32 s0, 0x1000
	global_load_dword v6, v[1:2], off
	global_load_dword v7, v[1:2], off offset:256
	global_load_dword v8, v[1:2], off offset:512
	;; [unrolled: 1-line block ×15, first 2 shown]
	v_add_co_u32_e32 v1, vcc, s0, v1
	v_addc_co_u32_e32 v2, vcc, 0, v2, vcc
	global_load_dword v22, v[1:2], off
	global_load_dword v23, v[1:2], off offset:256
	global_load_dword v24, v[1:2], off offset:512
	;; [unrolled: 1-line block ×14, first 2 shown]
	s_nop 0
	global_load_dword v1, v[1:2], off offset:3840
	v_lshlrev_b32_e32 v2, 13, v3
	v_or_b32_e32 v3, v2, v5
	v_add_u32_e32 v38, v2, v4
	s_waitcnt vmcnt(30)
	ds_write2st64_b32 v3, v6, v7 offset1:1
	s_waitcnt vmcnt(28)
	ds_write2st64_b32 v3, v8, v9 offset0:2 offset1:3
	s_waitcnt vmcnt(26)
	ds_write2st64_b32 v3, v10, v11 offset0:4 offset1:5
	;; [unrolled: 2-line block ×15, first 2 shown]
	v_or_b32_e32 v33, s4, v0
	v_lshlrev_b64 v[35:36], 2, v[33:34]
	v_mov_b32_e32 v0, s3
	v_add_co_u32_e32 v35, vcc, s2, v35
	; wave barrier
	ds_read_b128 v[1:4], v38
	ds_read_b128 v[5:8], v38 offset:16
	ds_read_b128 v[9:12], v38 offset:32
	;; [unrolled: 1-line block ×7, first 2 shown]
	v_addc_co_u32_e32 v36, vcc, v0, v36, vcc
	s_waitcnt lgkmcnt(7)
	global_store_dword v[35:36], v1, off
	global_store_dword v[35:36], v2, off offset:1024
	global_store_dword v[35:36], v3, off offset:2048
	;; [unrolled: 1-line block ×3, first 2 shown]
	v_or_b32_e32 v0, 0x400, v33
	v_mov_b32_e32 v1, v34
	v_lshlrev_b64 v[0:1], 2, v[0:1]
	v_mov_b32_e32 v2, s3
	v_add_co_u32_e32 v0, vcc, s2, v0
	v_addc_co_u32_e32 v1, vcc, v2, v1, vcc
	s_waitcnt lgkmcnt(6)
	global_store_dword v[0:1], v5, off
	v_or_b32_e32 v0, 0x500, v33
	v_mov_b32_e32 v1, v34
	v_lshlrev_b64 v[0:1], 2, v[0:1]
	v_add_co_u32_e32 v0, vcc, s2, v0
	v_addc_co_u32_e32 v1, vcc, v2, v1, vcc
	global_store_dword v[0:1], v6, off
	v_or_b32_e32 v0, 0x600, v33
	v_mov_b32_e32 v1, v34
	v_lshlrev_b64 v[0:1], 2, v[0:1]
	v_add_co_u32_e32 v0, vcc, s2, v0
	v_addc_co_u32_e32 v1, vcc, v2, v1, vcc
	global_store_dword v[0:1], v7, off
	v_or_b32_e32 v0, 0x700, v33
	v_mov_b32_e32 v1, v34
	v_lshlrev_b64 v[0:1], 2, v[0:1]
	v_add_co_u32_e32 v0, vcc, s2, v0
	v_addc_co_u32_e32 v1, vcc, v2, v1, vcc
	global_store_dword v[0:1], v8, off
	v_or_b32_e32 v0, 0x800, v33
	v_mov_b32_e32 v1, v34
	v_lshlrev_b64 v[0:1], 2, v[0:1]
	v_add_co_u32_e32 v0, vcc, s2, v0
	v_addc_co_u32_e32 v1, vcc, v2, v1, vcc
	s_waitcnt lgkmcnt(5)
	global_store_dword v[0:1], v9, off
	v_or_b32_e32 v0, 0x900, v33
	v_mov_b32_e32 v1, v34
	v_lshlrev_b64 v[0:1], 2, v[0:1]
	v_add_co_u32_e32 v0, vcc, s2, v0
	v_addc_co_u32_e32 v1, vcc, v2, v1, vcc
	global_store_dword v[0:1], v10, off
	v_or_b32_e32 v0, 0xa00, v33
	v_mov_b32_e32 v1, v34
	v_lshlrev_b64 v[0:1], 2, v[0:1]
	v_add_co_u32_e32 v0, vcc, s2, v0
	v_addc_co_u32_e32 v1, vcc, v2, v1, vcc
	global_store_dword v[0:1], v11, off
	v_or_b32_e32 v0, 0xb00, v33
	v_mov_b32_e32 v1, v34
	v_lshlrev_b64 v[0:1], 2, v[0:1]
	v_add_co_u32_e32 v0, vcc, s2, v0
	v_addc_co_u32_e32 v1, vcc, v2, v1, vcc
	global_store_dword v[0:1], v12, off
	v_or_b32_e32 v0, 0xc00, v33
	v_mov_b32_e32 v1, v34
	v_lshlrev_b64 v[0:1], 2, v[0:1]
	;; [unrolled: 25-line block ×6, first 2 shown]
	v_add_co_u32_e32 v0, vcc, s2, v0
	v_addc_co_u32_e32 v1, vcc, v2, v1, vcc
	s_waitcnt lgkmcnt(0)
	global_store_dword v[0:1], v29, off
	v_or_b32_e32 v0, 0x1d00, v33
	v_mov_b32_e32 v1, v34
	v_lshlrev_b64 v[0:1], 2, v[0:1]
	v_add_co_u32_e32 v0, vcc, s2, v0
	v_addc_co_u32_e32 v1, vcc, v2, v1, vcc
	global_store_dword v[0:1], v30, off
	v_or_b32_e32 v0, 0x1e00, v33
	v_mov_b32_e32 v1, v34
	v_lshlrev_b64 v[0:1], 2, v[0:1]
	v_or_b32_e32 v33, 0x1f00, v33
	v_add_co_u32_e32 v0, vcc, s2, v0
	v_addc_co_u32_e32 v1, vcc, v2, v1, vcc
	global_store_dword v[0:1], v31, off
	v_lshlrev_b64 v[0:1], 2, v[33:34]
	v_add_co_u32_e32 v0, vcc, s2, v0
	v_addc_co_u32_e32 v1, vcc, v2, v1, vcc
	global_store_dword v[0:1], v32, off
	s_endpgm
	.section	.rodata,"a",@progbits
	.p2align	6, 0x0
	.amdhsa_kernel _Z16warp_load_kernelILj256ELj32ELj64ELN6hipcub17WarpLoadAlgorithmE3EiEvPT3_S3_
		.amdhsa_group_segment_fixed_size 32768
		.amdhsa_private_segment_fixed_size 0
		.amdhsa_kernarg_size 16
		.amdhsa_user_sgpr_count 6
		.amdhsa_user_sgpr_private_segment_buffer 1
		.amdhsa_user_sgpr_dispatch_ptr 0
		.amdhsa_user_sgpr_queue_ptr 0
		.amdhsa_user_sgpr_kernarg_segment_ptr 1
		.amdhsa_user_sgpr_dispatch_id 0
		.amdhsa_user_sgpr_flat_scratch_init 0
		.amdhsa_user_sgpr_private_segment_size 0
		.amdhsa_uses_dynamic_stack 0
		.amdhsa_system_sgpr_private_segment_wavefront_offset 0
		.amdhsa_system_sgpr_workgroup_id_x 1
		.amdhsa_system_sgpr_workgroup_id_y 0
		.amdhsa_system_sgpr_workgroup_id_z 0
		.amdhsa_system_sgpr_workgroup_info 0
		.amdhsa_system_vgpr_workitem_id 0
		.amdhsa_next_free_vgpr 85
		.amdhsa_next_free_sgpr 98
		.amdhsa_reserve_vcc 1
		.amdhsa_reserve_flat_scratch 0
		.amdhsa_float_round_mode_32 0
		.amdhsa_float_round_mode_16_64 0
		.amdhsa_float_denorm_mode_32 3
		.amdhsa_float_denorm_mode_16_64 3
		.amdhsa_dx10_clamp 1
		.amdhsa_ieee_mode 1
		.amdhsa_fp16_overflow 0
		.amdhsa_exception_fp_ieee_invalid_op 0
		.amdhsa_exception_fp_denorm_src 0
		.amdhsa_exception_fp_ieee_div_zero 0
		.amdhsa_exception_fp_ieee_overflow 0
		.amdhsa_exception_fp_ieee_underflow 0
		.amdhsa_exception_fp_ieee_inexact 0
		.amdhsa_exception_int_div_zero 0
	.end_amdhsa_kernel
	.section	.text._Z16warp_load_kernelILj256ELj32ELj64ELN6hipcub17WarpLoadAlgorithmE3EiEvPT3_S3_,"axG",@progbits,_Z16warp_load_kernelILj256ELj32ELj64ELN6hipcub17WarpLoadAlgorithmE3EiEvPT3_S3_,comdat
.Lfunc_end52:
	.size	_Z16warp_load_kernelILj256ELj32ELj64ELN6hipcub17WarpLoadAlgorithmE3EiEvPT3_S3_, .Lfunc_end52-_Z16warp_load_kernelILj256ELj32ELj64ELN6hipcub17WarpLoadAlgorithmE3EiEvPT3_S3_
                                        ; -- End function
	.set _Z16warp_load_kernelILj256ELj32ELj64ELN6hipcub17WarpLoadAlgorithmE3EiEvPT3_S3_.num_vgpr, 39
	.set _Z16warp_load_kernelILj256ELj32ELj64ELN6hipcub17WarpLoadAlgorithmE3EiEvPT3_S3_.num_agpr, 0
	.set _Z16warp_load_kernelILj256ELj32ELj64ELN6hipcub17WarpLoadAlgorithmE3EiEvPT3_S3_.numbered_sgpr, 7
	.set _Z16warp_load_kernelILj256ELj32ELj64ELN6hipcub17WarpLoadAlgorithmE3EiEvPT3_S3_.num_named_barrier, 0
	.set _Z16warp_load_kernelILj256ELj32ELj64ELN6hipcub17WarpLoadAlgorithmE3EiEvPT3_S3_.private_seg_size, 0
	.set _Z16warp_load_kernelILj256ELj32ELj64ELN6hipcub17WarpLoadAlgorithmE3EiEvPT3_S3_.uses_vcc, 1
	.set _Z16warp_load_kernelILj256ELj32ELj64ELN6hipcub17WarpLoadAlgorithmE3EiEvPT3_S3_.uses_flat_scratch, 0
	.set _Z16warp_load_kernelILj256ELj32ELj64ELN6hipcub17WarpLoadAlgorithmE3EiEvPT3_S3_.has_dyn_sized_stack, 0
	.set _Z16warp_load_kernelILj256ELj32ELj64ELN6hipcub17WarpLoadAlgorithmE3EiEvPT3_S3_.has_recursion, 0
	.set _Z16warp_load_kernelILj256ELj32ELj64ELN6hipcub17WarpLoadAlgorithmE3EiEvPT3_S3_.has_indirect_call, 0
	.section	.AMDGPU.csdata,"",@progbits
; Kernel info:
; codeLenInByte = 1740
; TotalNumSgprs: 11
; NumVgprs: 39
; ScratchSize: 0
; MemoryBound: 0
; FloatMode: 240
; IeeeMode: 1
; LDSByteSize: 32768 bytes/workgroup (compile time only)
; SGPRBlocks: 12
; VGPRBlocks: 21
; NumSGPRsForWavesPerEU: 102
; NumVGPRsForWavesPerEU: 85
; Occupancy: 2
; WaveLimiterHint : 1
; COMPUTE_PGM_RSRC2:SCRATCH_EN: 0
; COMPUTE_PGM_RSRC2:USER_SGPR: 6
; COMPUTE_PGM_RSRC2:TRAP_HANDLER: 0
; COMPUTE_PGM_RSRC2:TGID_X_EN: 1
; COMPUTE_PGM_RSRC2:TGID_Y_EN: 0
; COMPUTE_PGM_RSRC2:TGID_Z_EN: 0
; COMPUTE_PGM_RSRC2:TIDIG_COMP_CNT: 0
	.section	.text._Z16warp_load_kernelILj256ELj64ELj64ELN6hipcub17WarpLoadAlgorithmE0EiEvPT3_S3_,"axG",@progbits,_Z16warp_load_kernelILj256ELj64ELj64ELN6hipcub17WarpLoadAlgorithmE0EiEvPT3_S3_,comdat
	.protected	_Z16warp_load_kernelILj256ELj64ELj64ELN6hipcub17WarpLoadAlgorithmE0EiEvPT3_S3_ ; -- Begin function _Z16warp_load_kernelILj256ELj64ELj64ELN6hipcub17WarpLoadAlgorithmE0EiEvPT3_S3_
	.globl	_Z16warp_load_kernelILj256ELj64ELj64ELN6hipcub17WarpLoadAlgorithmE0EiEvPT3_S3_
	.p2align	8
	.type	_Z16warp_load_kernelILj256ELj64ELj64ELN6hipcub17WarpLoadAlgorithmE0EiEvPT3_S3_,@function
_Z16warp_load_kernelILj256ELj64ELj64ELN6hipcub17WarpLoadAlgorithmE0EiEvPT3_S3_: ; @_Z16warp_load_kernelILj256ELj64ELj64ELN6hipcub17WarpLoadAlgorithmE0EiEvPT3_S3_
; %bb.0:
	v_mbcnt_lo_u32_b32 v1, -1, 0
	s_load_dwordx4 s[0:3], s[4:5], 0x0
	v_mbcnt_hi_u32_b32 v3, -1, v1
	v_lshlrev_b32_e32 v1, 6, v0
	s_lshl_b32 s4, s6, 14
	v_and_b32_e32 v1, 0x3000, v1
	v_or_b32_e32 v16, s4, v1
	v_mov_b32_e32 v17, 0
	v_lshlrev_b64 v[1:2], 2, v[16:17]
	s_waitcnt lgkmcnt(0)
	v_mov_b32_e32 v4, s1
	v_add_co_u32_e32 v1, vcc, s0, v1
	v_addc_co_u32_e32 v2, vcc, v4, v2, vcc
	v_lshlrev_b32_e32 v3, 8, v3
	v_add_co_u32_e32 v66, vcc, v1, v3
	v_addc_co_u32_e32 v67, vcc, 0, v2, vcc
	global_load_dwordx4 v[18:21], v[66:67], off
	global_load_dwordx4 v[22:25], v[66:67], off offset:16
	global_load_dwordx4 v[26:29], v[66:67], off offset:48
	;; [unrolled: 1-line block ×3, first 2 shown]
	v_or_b32_e32 v16, s4, v0
	v_lshlrev_b64 v[10:11], 2, v[16:17]
	v_mov_b32_e32 v1, v17
	v_or_b32_e32 v0, 0x400, v16
	v_mov_b32_e32 v12, s3
	v_lshlrev_b64 v[0:1], 2, v[0:1]
	v_add_co_u32_e32 v70, vcc, s2, v10
	v_mov_b32_e32 v3, v17
	v_or_b32_e32 v2, 0x500, v16
	v_addc_co_u32_e32 v71, vcc, v12, v11, vcc
	v_mov_b32_e32 v13, s3
	v_lshlrev_b64 v[2:3], 2, v[2:3]
	v_add_co_u32_e32 v72, vcc, s2, v0
	v_mov_b32_e32 v5, v17
	v_or_b32_e32 v4, 0x600, v16
	v_addc_co_u32_e32 v73, vcc, v13, v1, vcc
	;; [unrolled: 6-line block ×3, first 2 shown]
	v_mov_b32_e32 v15, s3
	v_lshlrev_b64 v[6:7], 2, v[6:7]
	v_add_co_u32_e32 v76, vcc, s2, v4
	v_addc_co_u32_e32 v77, vcc, v15, v5, vcc
	v_mov_b32_e32 v9, v17
	v_or_b32_e32 v8, 0x800, v16
	v_mov_b32_e32 v34, s3
	v_add_co_u32_e32 v78, vcc, s2, v6
	v_lshlrev_b64 v[68:69], 2, v[8:9]
	v_addc_co_u32_e32 v79, vcc, v34, v7, vcc
	global_load_dwordx4 v[34:37], v[66:67], off offset:112
	global_load_dwordx4 v[38:41], v[66:67], off offset:96
	;; [unrolled: 1-line block ×12, first 2 shown]
	v_mov_b32_e32 v80, s3
	v_mov_b32_e32 v66, s3
	s_waitcnt vmcnt(15)
	global_store_dword v[70:71], v18, off
	global_store_dword v[70:71], v19, off offset:1024
	global_store_dword v[70:71], v20, off offset:2048
	;; [unrolled: 1-line block ×3, first 2 shown]
	s_waitcnt vmcnt(18)
	global_store_dword v[72:73], v22, off
	global_store_dword v[74:75], v23, off
	;; [unrolled: 1-line block ×4, first 2 shown]
	v_or_b32_e32 v20, 0x900, v16
	v_mov_b32_e32 v21, v17
	v_add_co_u32_e32 v18, vcc, s2, v68
	v_lshlrev_b64 v[20:21], 2, v[20:21]
	v_addc_co_u32_e32 v19, vcc, v80, v69, vcc
	v_mov_b32_e32 v22, s3
	v_add_co_u32_e32 v20, vcc, s2, v20
	v_addc_co_u32_e32 v21, vcc, v22, v21, vcc
	v_or_b32_e32 v22, 0xa00, v16
	v_mov_b32_e32 v23, v17
	v_lshlrev_b64 v[22:23], 2, v[22:23]
	v_mov_b32_e32 v24, s3
	v_add_co_u32_e32 v22, vcc, s2, v22
	v_addc_co_u32_e32 v23, vcc, v24, v23, vcc
	v_or_b32_e32 v24, 0xb00, v16
	v_mov_b32_e32 v25, v17
	v_lshlrev_b64 v[24:25], 2, v[24:25]
	v_add_co_u32_e32 v24, vcc, s2, v24
	v_addc_co_u32_e32 v25, vcc, v66, v25, vcc
	s_waitcnt vmcnt(20)
	global_store_dword v[18:19], v30, off
	global_store_dword v[20:21], v31, off
	;; [unrolled: 1-line block ×4, first 2 shown]
	v_or_b32_e32 v18, 0xc00, v16
	v_mov_b32_e32 v19, v17
	v_lshlrev_b64 v[18:19], 2, v[18:19]
	v_mov_b32_e32 v20, s3
	v_add_co_u32_e32 v18, vcc, s2, v18
	v_addc_co_u32_e32 v19, vcc, v20, v19, vcc
	v_or_b32_e32 v20, 0xd00, v16
	v_mov_b32_e32 v21, v17
	v_lshlrev_b64 v[20:21], 2, v[20:21]
	v_mov_b32_e32 v22, s3
	v_add_co_u32_e32 v20, vcc, s2, v20
	v_addc_co_u32_e32 v21, vcc, v22, v21, vcc
	;; [unrolled: 6-line block ×4, first 2 shown]
	global_store_dword v[18:19], v26, off
	global_store_dword v[20:21], v27, off
	;; [unrolled: 1-line block ×4, first 2 shown]
	v_or_b32_e32 v18, 0x1000, v16
	v_mov_b32_e32 v19, v17
	v_lshlrev_b64 v[18:19], 2, v[18:19]
	v_mov_b32_e32 v20, s3
	v_add_co_u32_e32 v18, vcc, s2, v18
	v_addc_co_u32_e32 v19, vcc, v20, v19, vcc
	v_or_b32_e32 v20, 0x1100, v16
	v_mov_b32_e32 v21, v17
	v_lshlrev_b64 v[20:21], 2, v[20:21]
	v_mov_b32_e32 v22, s3
	v_add_co_u32_e32 v20, vcc, s2, v20
	v_addc_co_u32_e32 v21, vcc, v22, v21, vcc
	;; [unrolled: 6-line block ×4, first 2 shown]
	s_waitcnt vmcnt(24)
	global_store_dword v[18:19], v46, off
	global_store_dword v[20:21], v47, off
	global_store_dword v[22:23], v48, off
	global_store_dword v[24:25], v49, off
	v_or_b32_e32 v18, 0x1400, v16
	v_mov_b32_e32 v19, v17
	v_lshlrev_b64 v[18:19], 2, v[18:19]
	v_mov_b32_e32 v20, s3
	v_add_co_u32_e32 v18, vcc, s2, v18
	v_addc_co_u32_e32 v19, vcc, v20, v19, vcc
	v_or_b32_e32 v20, 0x1500, v16
	v_mov_b32_e32 v21, v17
	v_lshlrev_b64 v[20:21], 2, v[20:21]
	v_mov_b32_e32 v22, s3
	v_add_co_u32_e32 v20, vcc, s2, v20
	v_addc_co_u32_e32 v21, vcc, v22, v21, vcc
	v_or_b32_e32 v22, 0x1600, v16
	v_mov_b32_e32 v23, v17
	v_lshlrev_b64 v[22:23], 2, v[22:23]
	v_mov_b32_e32 v24, s3
	v_add_co_u32_e32 v22, vcc, s2, v22
	v_addc_co_u32_e32 v23, vcc, v24, v23, vcc
	v_or_b32_e32 v24, 0x1700, v16
	v_mov_b32_e32 v25, v17
	v_lshlrev_b64 v[24:25], 2, v[24:25]
	v_add_co_u32_e32 v24, vcc, s2, v24
	v_addc_co_u32_e32 v25, vcc, v26, v25, vcc
	global_store_dword v[18:19], v42, off
	global_store_dword v[20:21], v43, off
	global_store_dword v[22:23], v44, off
	global_store_dword v[24:25], v45, off
	v_or_b32_e32 v18, 0x1800, v16
	v_mov_b32_e32 v19, v17
	v_lshlrev_b64 v[18:19], 2, v[18:19]
	v_mov_b32_e32 v20, s3
	v_add_co_u32_e32 v18, vcc, s2, v18
	v_addc_co_u32_e32 v19, vcc, v20, v19, vcc
	v_or_b32_e32 v20, 0x1900, v16
	v_mov_b32_e32 v21, v17
	v_lshlrev_b64 v[20:21], 2, v[20:21]
	v_mov_b32_e32 v22, s3
	v_add_co_u32_e32 v20, vcc, s2, v20
	v_addc_co_u32_e32 v21, vcc, v22, v21, vcc
	v_or_b32_e32 v22, 0x1a00, v16
	v_mov_b32_e32 v23, v17
	v_lshlrev_b64 v[22:23], 2, v[22:23]
	v_mov_b32_e32 v24, s3
	v_add_co_u32_e32 v22, vcc, s2, v22
	v_addc_co_u32_e32 v23, vcc, v24, v23, vcc
	v_or_b32_e32 v24, 0x1b00, v16
	v_mov_b32_e32 v25, v17
	v_lshlrev_b64 v[24:25], 2, v[24:25]
	v_add_co_u32_e32 v24, vcc, s2, v24
	v_addc_co_u32_e32 v25, vcc, v26, v25, vcc
	;; [unrolled: 27-line block ×4, first 2 shown]
	s_waitcnt vmcnt(36)
	global_store_dword v[18:19], v62, off
	global_store_dword v[20:21], v63, off
	global_store_dword v[22:23], v64, off
	global_store_dword v[24:25], v65, off
	v_or_b32_e32 v18, 0x2400, v16
	v_mov_b32_e32 v19, v17
	v_lshlrev_b64 v[18:19], 2, v[18:19]
	v_mov_b32_e32 v20, s3
	v_add_co_u32_e32 v18, vcc, s2, v18
	v_addc_co_u32_e32 v19, vcc, v20, v19, vcc
	v_or_b32_e32 v20, 0x2500, v16
	v_mov_b32_e32 v21, v17
	v_lshlrev_b64 v[20:21], 2, v[20:21]
	v_mov_b32_e32 v22, s3
	v_add_co_u32_e32 v20, vcc, s2, v20
	v_addc_co_u32_e32 v21, vcc, v22, v21, vcc
	v_or_b32_e32 v22, 0x2600, v16
	v_mov_b32_e32 v23, v17
	v_lshlrev_b64 v[22:23], 2, v[22:23]
	v_mov_b32_e32 v24, s3
	v_add_co_u32_e32 v22, vcc, s2, v22
	v_addc_co_u32_e32 v23, vcc, v24, v23, vcc
	v_or_b32_e32 v24, 0x2700, v16
	v_mov_b32_e32 v25, v17
	v_lshlrev_b64 v[24:25], 2, v[24:25]
	v_add_co_u32_e32 v24, vcc, s2, v24
	v_addc_co_u32_e32 v25, vcc, v26, v25, vcc
	global_store_dword v[18:19], v58, off
	global_store_dword v[20:21], v59, off
	global_store_dword v[22:23], v60, off
	global_store_dword v[24:25], v61, off
	v_or_b32_e32 v18, 0x2800, v16
	v_mov_b32_e32 v19, v17
	v_lshlrev_b64 v[18:19], 2, v[18:19]
	v_mov_b32_e32 v20, s3
	v_add_co_u32_e32 v18, vcc, s2, v18
	v_addc_co_u32_e32 v19, vcc, v20, v19, vcc
	v_or_b32_e32 v20, 0x2900, v16
	v_mov_b32_e32 v21, v17
	v_lshlrev_b64 v[20:21], 2, v[20:21]
	v_mov_b32_e32 v22, s3
	v_add_co_u32_e32 v20, vcc, s2, v20
	v_addc_co_u32_e32 v21, vcc, v22, v21, vcc
	v_or_b32_e32 v22, 0x2a00, v16
	v_mov_b32_e32 v23, v17
	v_lshlrev_b64 v[22:23], 2, v[22:23]
	v_mov_b32_e32 v24, s3
	v_add_co_u32_e32 v22, vcc, s2, v22
	v_addc_co_u32_e32 v23, vcc, v24, v23, vcc
	v_or_b32_e32 v24, 0x2b00, v16
	v_mov_b32_e32 v25, v17
	v_lshlrev_b64 v[24:25], 2, v[24:25]
	v_add_co_u32_e32 v24, vcc, s2, v24
	v_addc_co_u32_e32 v25, vcc, v26, v25, vcc
	;; [unrolled: 27-line block ×4, first 2 shown]
	s_waitcnt vmcnt(48)
	global_store_dword v[18:19], v12, off
	global_store_dword v[20:21], v13, off
	;; [unrolled: 1-line block ×4, first 2 shown]
	v_or_b32_e32 v12, 0x3400, v16
	v_mov_b32_e32 v13, v17
	v_lshlrev_b64 v[12:13], 2, v[12:13]
	v_mov_b32_e32 v14, s3
	v_add_co_u32_e32 v12, vcc, s2, v12
	v_addc_co_u32_e32 v13, vcc, v14, v13, vcc
	global_store_dword v[12:13], v8, off
	v_or_b32_e32 v12, 0x3500, v16
	v_mov_b32_e32 v13, v17
	v_lshlrev_b64 v[12:13], 2, v[12:13]
	v_mov_b32_e32 v8, s3
	v_add_co_u32_e32 v12, vcc, s2, v12
	v_addc_co_u32_e32 v13, vcc, v8, v13, vcc
	global_store_dword v[12:13], v9, off
	;; [unrolled: 7-line block ×4, first 2 shown]
	v_or_b32_e32 v8, 0x3800, v16
	v_mov_b32_e32 v9, v17
	v_lshlrev_b64 v[8:9], 2, v[8:9]
	v_add_co_u32_e32 v8, vcc, s2, v8
	v_addc_co_u32_e32 v9, vcc, v10, v9, vcc
	global_store_dword v[8:9], v4, off
	v_or_b32_e32 v8, 0x3900, v16
	v_mov_b32_e32 v9, v17
	v_lshlrev_b64 v[8:9], 2, v[8:9]
	v_mov_b32_e32 v4, s3
	v_add_co_u32_e32 v8, vcc, s2, v8
	v_addc_co_u32_e32 v9, vcc, v4, v9, vcc
	global_store_dword v[8:9], v5, off
	v_or_b32_e32 v4, 0x3a00, v16
	v_mov_b32_e32 v5, v17
	v_lshlrev_b64 v[4:5], 2, v[4:5]
	v_mov_b32_e32 v8, s3
	;; [unrolled: 7-line block ×3, first 2 shown]
	v_add_co_u32_e32 v4, vcc, s2, v4
	v_addc_co_u32_e32 v5, vcc, v6, v5, vcc
	global_store_dword v[4:5], v7, off
	v_or_b32_e32 v4, 0x3c00, v16
	v_mov_b32_e32 v5, v17
	v_lshlrev_b64 v[4:5], 2, v[4:5]
	v_add_co_u32_e32 v4, vcc, s2, v4
	v_addc_co_u32_e32 v5, vcc, v6, v5, vcc
	global_store_dword v[4:5], v0, off
	v_or_b32_e32 v4, 0x3d00, v16
	v_mov_b32_e32 v5, v17
	v_lshlrev_b64 v[4:5], 2, v[4:5]
	v_mov_b32_e32 v0, s3
	v_add_co_u32_e32 v4, vcc, s2, v4
	v_addc_co_u32_e32 v5, vcc, v0, v5, vcc
	global_store_dword v[4:5], v1, off
	v_or_b32_e32 v0, 0x3e00, v16
	v_mov_b32_e32 v1, v17
	v_lshlrev_b64 v[0:1], 2, v[0:1]
	v_mov_b32_e32 v4, s3
	v_add_co_u32_e32 v0, vcc, s2, v0
	v_addc_co_u32_e32 v1, vcc, v4, v1, vcc
	v_or_b32_e32 v16, 0x3f00, v16
	global_store_dword v[0:1], v2, off
	v_lshlrev_b64 v[0:1], 2, v[16:17]
	v_mov_b32_e32 v2, s3
	v_add_co_u32_e32 v0, vcc, s2, v0
	v_addc_co_u32_e32 v1, vcc, v2, v1, vcc
	global_store_dword v[0:1], v3, off
	s_endpgm
	.section	.rodata,"a",@progbits
	.p2align	6, 0x0
	.amdhsa_kernel _Z16warp_load_kernelILj256ELj64ELj64ELN6hipcub17WarpLoadAlgorithmE0EiEvPT3_S3_
		.amdhsa_group_segment_fixed_size 0
		.amdhsa_private_segment_fixed_size 0
		.amdhsa_kernarg_size 16
		.amdhsa_user_sgpr_count 6
		.amdhsa_user_sgpr_private_segment_buffer 1
		.amdhsa_user_sgpr_dispatch_ptr 0
		.amdhsa_user_sgpr_queue_ptr 0
		.amdhsa_user_sgpr_kernarg_segment_ptr 1
		.amdhsa_user_sgpr_dispatch_id 0
		.amdhsa_user_sgpr_flat_scratch_init 0
		.amdhsa_user_sgpr_private_segment_size 0
		.amdhsa_uses_dynamic_stack 0
		.amdhsa_system_sgpr_private_segment_wavefront_offset 0
		.amdhsa_system_sgpr_workgroup_id_x 1
		.amdhsa_system_sgpr_workgroup_id_y 0
		.amdhsa_system_sgpr_workgroup_id_z 0
		.amdhsa_system_sgpr_workgroup_info 0
		.amdhsa_system_vgpr_workitem_id 0
		.amdhsa_next_free_vgpr 81
		.amdhsa_next_free_sgpr 7
		.amdhsa_reserve_vcc 1
		.amdhsa_reserve_flat_scratch 0
		.amdhsa_float_round_mode_32 0
		.amdhsa_float_round_mode_16_64 0
		.amdhsa_float_denorm_mode_32 3
		.amdhsa_float_denorm_mode_16_64 3
		.amdhsa_dx10_clamp 1
		.amdhsa_ieee_mode 1
		.amdhsa_fp16_overflow 0
		.amdhsa_exception_fp_ieee_invalid_op 0
		.amdhsa_exception_fp_denorm_src 0
		.amdhsa_exception_fp_ieee_div_zero 0
		.amdhsa_exception_fp_ieee_overflow 0
		.amdhsa_exception_fp_ieee_underflow 0
		.amdhsa_exception_fp_ieee_inexact 0
		.amdhsa_exception_int_div_zero 0
	.end_amdhsa_kernel
	.section	.text._Z16warp_load_kernelILj256ELj64ELj64ELN6hipcub17WarpLoadAlgorithmE0EiEvPT3_S3_,"axG",@progbits,_Z16warp_load_kernelILj256ELj64ELj64ELN6hipcub17WarpLoadAlgorithmE0EiEvPT3_S3_,comdat
.Lfunc_end53:
	.size	_Z16warp_load_kernelILj256ELj64ELj64ELN6hipcub17WarpLoadAlgorithmE0EiEvPT3_S3_, .Lfunc_end53-_Z16warp_load_kernelILj256ELj64ELj64ELN6hipcub17WarpLoadAlgorithmE0EiEvPT3_S3_
                                        ; -- End function
	.set _Z16warp_load_kernelILj256ELj64ELj64ELN6hipcub17WarpLoadAlgorithmE0EiEvPT3_S3_.num_vgpr, 81
	.set _Z16warp_load_kernelILj256ELj64ELj64ELN6hipcub17WarpLoadAlgorithmE0EiEvPT3_S3_.num_agpr, 0
	.set _Z16warp_load_kernelILj256ELj64ELj64ELN6hipcub17WarpLoadAlgorithmE0EiEvPT3_S3_.numbered_sgpr, 7
	.set _Z16warp_load_kernelILj256ELj64ELj64ELN6hipcub17WarpLoadAlgorithmE0EiEvPT3_S3_.num_named_barrier, 0
	.set _Z16warp_load_kernelILj256ELj64ELj64ELN6hipcub17WarpLoadAlgorithmE0EiEvPT3_S3_.private_seg_size, 0
	.set _Z16warp_load_kernelILj256ELj64ELj64ELN6hipcub17WarpLoadAlgorithmE0EiEvPT3_S3_.uses_vcc, 1
	.set _Z16warp_load_kernelILj256ELj64ELj64ELN6hipcub17WarpLoadAlgorithmE0EiEvPT3_S3_.uses_flat_scratch, 0
	.set _Z16warp_load_kernelILj256ELj64ELj64ELN6hipcub17WarpLoadAlgorithmE0EiEvPT3_S3_.has_dyn_sized_stack, 0
	.set _Z16warp_load_kernelILj256ELj64ELj64ELN6hipcub17WarpLoadAlgorithmE0EiEvPT3_S3_.has_recursion, 0
	.set _Z16warp_load_kernelILj256ELj64ELj64ELN6hipcub17WarpLoadAlgorithmE0EiEvPT3_S3_.has_indirect_call, 0
	.section	.AMDGPU.csdata,"",@progbits
; Kernel info:
; codeLenInByte = 2652
; TotalNumSgprs: 11
; NumVgprs: 81
; ScratchSize: 0
; MemoryBound: 0
; FloatMode: 240
; IeeeMode: 1
; LDSByteSize: 0 bytes/workgroup (compile time only)
; SGPRBlocks: 1
; VGPRBlocks: 20
; NumSGPRsForWavesPerEU: 11
; NumVGPRsForWavesPerEU: 81
; Occupancy: 3
; WaveLimiterHint : 1
; COMPUTE_PGM_RSRC2:SCRATCH_EN: 0
; COMPUTE_PGM_RSRC2:USER_SGPR: 6
; COMPUTE_PGM_RSRC2:TRAP_HANDLER: 0
; COMPUTE_PGM_RSRC2:TGID_X_EN: 1
; COMPUTE_PGM_RSRC2:TGID_Y_EN: 0
; COMPUTE_PGM_RSRC2:TGID_Z_EN: 0
; COMPUTE_PGM_RSRC2:TIDIG_COMP_CNT: 0
	.section	.text._Z16warp_load_kernelILj256ELj64ELj64ELN6hipcub17WarpLoadAlgorithmE1EiEvPT3_S3_,"axG",@progbits,_Z16warp_load_kernelILj256ELj64ELj64ELN6hipcub17WarpLoadAlgorithmE1EiEvPT3_S3_,comdat
	.protected	_Z16warp_load_kernelILj256ELj64ELj64ELN6hipcub17WarpLoadAlgorithmE1EiEvPT3_S3_ ; -- Begin function _Z16warp_load_kernelILj256ELj64ELj64ELN6hipcub17WarpLoadAlgorithmE1EiEvPT3_S3_
	.globl	_Z16warp_load_kernelILj256ELj64ELj64ELN6hipcub17WarpLoadAlgorithmE1EiEvPT3_S3_
	.p2align	8
	.type	_Z16warp_load_kernelILj256ELj64ELj64ELN6hipcub17WarpLoadAlgorithmE1EiEvPT3_S3_,@function
_Z16warp_load_kernelILj256ELj64ELj64ELN6hipcub17WarpLoadAlgorithmE1EiEvPT3_S3_: ; @_Z16warp_load_kernelILj256ELj64ELj64ELN6hipcub17WarpLoadAlgorithmE1EiEvPT3_S3_
; %bb.0:
	v_mbcnt_lo_u32_b32 v1, -1, 0
	s_load_dwordx4 s[0:3], s[4:5], 0x0
	v_mbcnt_hi_u32_b32 v5, -1, v1
	v_lshlrev_b32_e32 v1, 6, v0
	s_lshl_b32 s4, s6, 14
	v_and_b32_e32 v1, 0x3000, v1
	v_or_b32_e32 v1, s4, v1
	v_mov_b32_e32 v2, 0
	v_lshlrev_b64 v[3:4], 2, v[1:2]
	s_waitcnt lgkmcnt(0)
	v_mov_b32_e32 v1, s1
	v_add_co_u32_e32 v3, vcc, s0, v3
	v_addc_co_u32_e32 v1, vcc, v1, v4, vcc
	v_lshlrev_b32_e32 v4, 2, v5
	v_add_co_u32_e32 v3, vcc, v3, v4
	v_lshlrev_b32_e32 v4, 8, v5
	v_addc_co_u32_e32 v1, vcc, 0, v1, vcc
	v_and_b32_e32 v4, 0x4000, v4
	v_add_co_u32_e32 v3, vcc, v3, v4
	v_addc_co_u32_e32 v4, vcc, 0, v1, vcc
	global_load_dword v26, v[3:4], off
	global_load_dword v27, v[3:4], off offset:256
	global_load_dword v28, v[3:4], off offset:512
	;; [unrolled: 1-line block ×7, first 2 shown]
	s_movk_i32 s0, 0x1000
	v_or_b32_e32 v1, s4, v0
	v_add_co_u32_e32 v5, vcc, s0, v3
	v_lshlrev_b64 v[7:8], 2, v[1:2]
	v_addc_co_u32_e32 v6, vcc, 0, v4, vcc
	v_mov_b32_e32 v0, s3
	v_add_co_u32_e32 v20, vcc, s2, v7
	s_movk_i32 s0, 0x2000
	v_addc_co_u32_e32 v21, vcc, v0, v8, vcc
	v_add_co_u32_e32 v22, vcc, s0, v3
	s_movk_i32 s5, 0x3000
	v_addc_co_u32_e32 v23, vcc, 0, v4, vcc
	v_add_co_u32_e32 v24, vcc, s5, v3
	v_addc_co_u32_e32 v25, vcc, 0, v4, vcc
	global_load_dword v34, v[3:4], off offset:2048
	global_load_dword v35, v[3:4], off offset:2304
	;; [unrolled: 1-line block ×8, first 2 shown]
	global_load_dword v42, v[22:23], off
	global_load_dword v43, v[22:23], off offset:256
	global_load_dword v44, v[22:23], off offset:512
	;; [unrolled: 1-line block ×6, first 2 shown]
                                        ; kill: killed $vgpr3 killed $vgpr4
	global_load_dword v49, v[22:23], off offset:1792
	global_load_dword v50, v[22:23], off offset:2048
	;; [unrolled: 1-line block ×24, first 2 shown]
	global_load_dword v18, v[24:25], off
	global_load_dword v16, v[24:25], off offset:256
	global_load_dword v15, v[24:25], off offset:512
	;; [unrolled: 1-line block ×5, first 2 shown]
                                        ; kill: killed $vgpr5 killed $vgpr6
	global_load_dword v11, v[24:25], off offset:1536
	global_load_dword v10, v[24:25], off offset:1792
	;; [unrolled: 1-line block ×3, first 2 shown]
	global_load_dword v71, v[22:23], off offset:-4096
	global_load_dword v8, v[24:25], off offset:2304
	global_load_dword v7, v[24:25], off offset:2560
	global_load_dword v6, v[24:25], off offset:2816
	global_load_dword v5, v[24:25], off offset:3072
	global_load_dword v4, v[24:25], off offset:3328
	global_load_dword v3, v[24:25], off offset:3584
	global_load_dword v0, v[24:25], off offset:3840
	v_mov_b32_e32 v22, s3
	s_waitcnt vmcnt(62)
	global_store_dword v[20:21], v26, off
	global_store_dword v[20:21], v27, off offset:1024
	s_waitcnt vmcnt(62)
	global_store_dword v[20:21], v28, off offset:2048
	global_store_dword v[20:21], v29, off offset:3072
	v_or_b32_e32 v20, 0x400, v1
	v_mov_b32_e32 v21, v2
	v_lshlrev_b64 v[20:21], 2, v[20:21]
	v_add_co_u32_e32 v20, vcc, s2, v20
	v_addc_co_u32_e32 v21, vcc, v22, v21, vcc
	s_waitcnt vmcnt(62)
	global_store_dword v[20:21], v30, off
	v_or_b32_e32 v20, 0x500, v1
	v_mov_b32_e32 v21, v2
	v_lshlrev_b64 v[20:21], 2, v[20:21]
	v_add_co_u32_e32 v20, vcc, s2, v20
	v_addc_co_u32_e32 v21, vcc, v22, v21, vcc
	global_store_dword v[20:21], v31, off
	v_or_b32_e32 v20, 0x600, v1
	v_mov_b32_e32 v21, v2
	v_lshlrev_b64 v[20:21], 2, v[20:21]
	v_add_co_u32_e32 v20, vcc, s2, v20
	v_addc_co_u32_e32 v21, vcc, v22, v21, vcc
	s_waitcnt vmcnt(62)
	global_store_dword v[20:21], v32, off
	v_or_b32_e32 v20, 0x700, v1
	v_mov_b32_e32 v21, v2
	v_lshlrev_b64 v[20:21], 2, v[20:21]
	v_add_co_u32_e32 v20, vcc, s2, v20
	v_addc_co_u32_e32 v21, vcc, v22, v21, vcc
	global_store_dword v[20:21], v33, off
	;; [unrolled: 13-line block ×7, first 2 shown]
	v_or_b32_e32 v20, 0x1200, v1
	v_mov_b32_e32 v21, v2
	v_lshlrev_b64 v[20:21], 2, v[20:21]
	v_add_co_u32_e32 v20, vcc, s2, v20
	v_addc_co_u32_e32 v21, vcc, v22, v21, vcc
	global_store_dword v[20:21], v57, off
	v_or_b32_e32 v20, 0x1300, v1
	v_mov_b32_e32 v21, v2
	v_lshlrev_b64 v[20:21], 2, v[20:21]
	v_add_co_u32_e32 v20, vcc, s2, v20
	v_addc_co_u32_e32 v21, vcc, v22, v21, vcc
	global_store_dword v[20:21], v58, off
	;; [unrolled: 6-line block ×29, first 2 shown]
	v_or_b32_e32 v19, 0x2f00, v1
	v_mov_b32_e32 v20, v2
	v_lshlrev_b64 v[19:20], 2, v[19:20]
	v_mov_b32_e32 v21, s3
	v_add_co_u32_e32 v19, vcc, s2, v19
	v_addc_co_u32_e32 v20, vcc, v21, v20, vcc
	global_store_dword v[19:20], v17, off
	v_or_b32_e32 v19, 0x3000, v1
	v_mov_b32_e32 v20, v2
	v_lshlrev_b64 v[19:20], 2, v[19:20]
	v_mov_b32_e32 v17, s3
	v_add_co_u32_e32 v19, vcc, s2, v19
	v_addc_co_u32_e32 v20, vcc, v17, v20, vcc
	global_store_dword v[19:20], v18, off
	;; [unrolled: 7-line block ×10, first 2 shown]
	v_or_b32_e32 v9, 0x3900, v1
	v_mov_b32_e32 v10, v2
	v_lshlrev_b64 v[9:10], 2, v[9:10]
	v_mov_b32_e32 v11, s3
	v_add_co_u32_e32 v9, vcc, s2, v9
	v_addc_co_u32_e32 v10, vcc, v11, v10, vcc
	s_waitcnt vmcnt(62)
	global_store_dword v[9:10], v8, off
	v_or_b32_e32 v8, 0x3a00, v1
	v_mov_b32_e32 v9, v2
	v_lshlrev_b64 v[8:9], 2, v[8:9]
	v_mov_b32_e32 v10, s3
	v_add_co_u32_e32 v8, vcc, s2, v8
	v_addc_co_u32_e32 v9, vcc, v10, v9, vcc
	global_store_dword v[8:9], v7, off
	v_or_b32_e32 v7, 0x3b00, v1
	v_mov_b32_e32 v8, v2
	v_lshlrev_b64 v[7:8], 2, v[7:8]
	v_mov_b32_e32 v9, s3
	v_add_co_u32_e32 v7, vcc, s2, v7
	v_addc_co_u32_e32 v8, vcc, v9, v8, vcc
	s_waitcnt vmcnt(62)
	global_store_dword v[7:8], v6, off
	v_or_b32_e32 v6, 0x3c00, v1
	v_mov_b32_e32 v7, v2
	v_lshlrev_b64 v[6:7], 2, v[6:7]
	v_mov_b32_e32 v8, s3
	v_add_co_u32_e32 v6, vcc, s2, v6
	v_addc_co_u32_e32 v7, vcc, v8, v7, vcc
	global_store_dword v[6:7], v5, off
	v_or_b32_e32 v5, 0x3d00, v1
	v_mov_b32_e32 v6, v2
	v_lshlrev_b64 v[5:6], 2, v[5:6]
	v_mov_b32_e32 v7, s3
	v_add_co_u32_e32 v5, vcc, s2, v5
	v_addc_co_u32_e32 v6, vcc, v7, v6, vcc
	s_waitcnt vmcnt(62)
	global_store_dword v[5:6], v4, off
	v_or_b32_e32 v4, 0x3e00, v1
	v_mov_b32_e32 v5, v2
	v_lshlrev_b64 v[4:5], 2, v[4:5]
	v_or_b32_e32 v1, 0x3f00, v1
	v_mov_b32_e32 v6, s3
	v_add_co_u32_e32 v4, vcc, s2, v4
	v_lshlrev_b64 v[1:2], 2, v[1:2]
	v_addc_co_u32_e32 v5, vcc, v6, v5, vcc
	global_store_dword v[4:5], v3, off
	v_mov_b32_e32 v3, s3
	v_add_co_u32_e32 v1, vcc, s2, v1
	v_addc_co_u32_e32 v2, vcc, v3, v2, vcc
	s_waitcnt vmcnt(62)
	global_store_dword v[1:2], v0, off
	s_endpgm
	.section	.rodata,"a",@progbits
	.p2align	6, 0x0
	.amdhsa_kernel _Z16warp_load_kernelILj256ELj64ELj64ELN6hipcub17WarpLoadAlgorithmE1EiEvPT3_S3_
		.amdhsa_group_segment_fixed_size 0
		.amdhsa_private_segment_fixed_size 0
		.amdhsa_kernarg_size 16
		.amdhsa_user_sgpr_count 6
		.amdhsa_user_sgpr_private_segment_buffer 1
		.amdhsa_user_sgpr_dispatch_ptr 0
		.amdhsa_user_sgpr_queue_ptr 0
		.amdhsa_user_sgpr_kernarg_segment_ptr 1
		.amdhsa_user_sgpr_dispatch_id 0
		.amdhsa_user_sgpr_flat_scratch_init 0
		.amdhsa_user_sgpr_private_segment_size 0
		.amdhsa_uses_dynamic_stack 0
		.amdhsa_system_sgpr_private_segment_wavefront_offset 0
		.amdhsa_system_sgpr_workgroup_id_x 1
		.amdhsa_system_sgpr_workgroup_id_y 0
		.amdhsa_system_sgpr_workgroup_id_z 0
		.amdhsa_system_sgpr_workgroup_info 0
		.amdhsa_system_vgpr_workitem_id 0
		.amdhsa_next_free_vgpr 72
		.amdhsa_next_free_sgpr 7
		.amdhsa_reserve_vcc 1
		.amdhsa_reserve_flat_scratch 0
		.amdhsa_float_round_mode_32 0
		.amdhsa_float_round_mode_16_64 0
		.amdhsa_float_denorm_mode_32 3
		.amdhsa_float_denorm_mode_16_64 3
		.amdhsa_dx10_clamp 1
		.amdhsa_ieee_mode 1
		.amdhsa_fp16_overflow 0
		.amdhsa_exception_fp_ieee_invalid_op 0
		.amdhsa_exception_fp_denorm_src 0
		.amdhsa_exception_fp_ieee_div_zero 0
		.amdhsa_exception_fp_ieee_overflow 0
		.amdhsa_exception_fp_ieee_underflow 0
		.amdhsa_exception_fp_ieee_inexact 0
		.amdhsa_exception_int_div_zero 0
	.end_amdhsa_kernel
	.section	.text._Z16warp_load_kernelILj256ELj64ELj64ELN6hipcub17WarpLoadAlgorithmE1EiEvPT3_S3_,"axG",@progbits,_Z16warp_load_kernelILj256ELj64ELj64ELN6hipcub17WarpLoadAlgorithmE1EiEvPT3_S3_,comdat
.Lfunc_end54:
	.size	_Z16warp_load_kernelILj256ELj64ELj64ELN6hipcub17WarpLoadAlgorithmE1EiEvPT3_S3_, .Lfunc_end54-_Z16warp_load_kernelILj256ELj64ELj64ELN6hipcub17WarpLoadAlgorithmE1EiEvPT3_S3_
                                        ; -- End function
	.set _Z16warp_load_kernelILj256ELj64ELj64ELN6hipcub17WarpLoadAlgorithmE1EiEvPT3_S3_.num_vgpr, 72
	.set _Z16warp_load_kernelILj256ELj64ELj64ELN6hipcub17WarpLoadAlgorithmE1EiEvPT3_S3_.num_agpr, 0
	.set _Z16warp_load_kernelILj256ELj64ELj64ELN6hipcub17WarpLoadAlgorithmE1EiEvPT3_S3_.numbered_sgpr, 7
	.set _Z16warp_load_kernelILj256ELj64ELj64ELN6hipcub17WarpLoadAlgorithmE1EiEvPT3_S3_.num_named_barrier, 0
	.set _Z16warp_load_kernelILj256ELj64ELj64ELN6hipcub17WarpLoadAlgorithmE1EiEvPT3_S3_.private_seg_size, 0
	.set _Z16warp_load_kernelILj256ELj64ELj64ELN6hipcub17WarpLoadAlgorithmE1EiEvPT3_S3_.uses_vcc, 1
	.set _Z16warp_load_kernelILj256ELj64ELj64ELN6hipcub17WarpLoadAlgorithmE1EiEvPT3_S3_.uses_flat_scratch, 0
	.set _Z16warp_load_kernelILj256ELj64ELj64ELN6hipcub17WarpLoadAlgorithmE1EiEvPT3_S3_.has_dyn_sized_stack, 0
	.set _Z16warp_load_kernelILj256ELj64ELj64ELN6hipcub17WarpLoadAlgorithmE1EiEvPT3_S3_.has_recursion, 0
	.set _Z16warp_load_kernelILj256ELj64ELj64ELN6hipcub17WarpLoadAlgorithmE1EiEvPT3_S3_.has_indirect_call, 0
	.section	.AMDGPU.csdata,"",@progbits
; Kernel info:
; codeLenInByte = 2992
; TotalNumSgprs: 11
; NumVgprs: 72
; ScratchSize: 0
; MemoryBound: 0
; FloatMode: 240
; IeeeMode: 1
; LDSByteSize: 0 bytes/workgroup (compile time only)
; SGPRBlocks: 1
; VGPRBlocks: 17
; NumSGPRsForWavesPerEU: 11
; NumVGPRsForWavesPerEU: 72
; Occupancy: 3
; WaveLimiterHint : 1
; COMPUTE_PGM_RSRC2:SCRATCH_EN: 0
; COMPUTE_PGM_RSRC2:USER_SGPR: 6
; COMPUTE_PGM_RSRC2:TRAP_HANDLER: 0
; COMPUTE_PGM_RSRC2:TGID_X_EN: 1
; COMPUTE_PGM_RSRC2:TGID_Y_EN: 0
; COMPUTE_PGM_RSRC2:TGID_Z_EN: 0
; COMPUTE_PGM_RSRC2:TIDIG_COMP_CNT: 0
	.section	.text._Z16warp_load_kernelILj256ELj64ELj64ELN6hipcub17WarpLoadAlgorithmE2EiEvPT3_S3_,"axG",@progbits,_Z16warp_load_kernelILj256ELj64ELj64ELN6hipcub17WarpLoadAlgorithmE2EiEvPT3_S3_,comdat
	.protected	_Z16warp_load_kernelILj256ELj64ELj64ELN6hipcub17WarpLoadAlgorithmE2EiEvPT3_S3_ ; -- Begin function _Z16warp_load_kernelILj256ELj64ELj64ELN6hipcub17WarpLoadAlgorithmE2EiEvPT3_S3_
	.globl	_Z16warp_load_kernelILj256ELj64ELj64ELN6hipcub17WarpLoadAlgorithmE2EiEvPT3_S3_
	.p2align	8
	.type	_Z16warp_load_kernelILj256ELj64ELj64ELN6hipcub17WarpLoadAlgorithmE2EiEvPT3_S3_,@function
_Z16warp_load_kernelILj256ELj64ELj64ELN6hipcub17WarpLoadAlgorithmE2EiEvPT3_S3_: ; @_Z16warp_load_kernelILj256ELj64ELj64ELN6hipcub17WarpLoadAlgorithmE2EiEvPT3_S3_
; %bb.0:
	v_mbcnt_lo_u32_b32 v1, -1, 0
	s_load_dwordx4 s[0:3], s[4:5], 0x0
	v_mbcnt_hi_u32_b32 v3, -1, v1
	v_lshlrev_b32_e32 v1, 6, v0
	s_lshl_b32 s4, s6, 14
	v_and_b32_e32 v1, 0x3000, v1
	v_or_b32_e32 v16, s4, v1
	v_mov_b32_e32 v17, 0
	v_lshlrev_b64 v[1:2], 2, v[16:17]
	s_waitcnt lgkmcnt(0)
	v_mov_b32_e32 v4, s1
	v_add_co_u32_e32 v1, vcc, s0, v1
	v_addc_co_u32_e32 v2, vcc, v4, v2, vcc
	v_lshlrev_b32_e32 v3, 8, v3
	v_add_co_u32_e32 v66, vcc, v1, v3
	v_addc_co_u32_e32 v67, vcc, 0, v2, vcc
	global_load_dwordx4 v[18:21], v[66:67], off
	global_load_dwordx4 v[22:25], v[66:67], off offset:16
	global_load_dwordx4 v[26:29], v[66:67], off offset:48
	;; [unrolled: 1-line block ×3, first 2 shown]
	v_or_b32_e32 v16, s4, v0
	v_lshlrev_b64 v[10:11], 2, v[16:17]
	v_mov_b32_e32 v1, v17
	v_or_b32_e32 v0, 0x400, v16
	v_mov_b32_e32 v12, s3
	v_lshlrev_b64 v[0:1], 2, v[0:1]
	v_add_co_u32_e32 v70, vcc, s2, v10
	v_mov_b32_e32 v3, v17
	v_or_b32_e32 v2, 0x500, v16
	v_addc_co_u32_e32 v71, vcc, v12, v11, vcc
	v_mov_b32_e32 v13, s3
	v_lshlrev_b64 v[2:3], 2, v[2:3]
	v_add_co_u32_e32 v72, vcc, s2, v0
	v_mov_b32_e32 v5, v17
	v_or_b32_e32 v4, 0x600, v16
	v_addc_co_u32_e32 v73, vcc, v13, v1, vcc
	;; [unrolled: 6-line block ×3, first 2 shown]
	v_mov_b32_e32 v15, s3
	v_lshlrev_b64 v[6:7], 2, v[6:7]
	v_add_co_u32_e32 v76, vcc, s2, v4
	v_addc_co_u32_e32 v77, vcc, v15, v5, vcc
	v_mov_b32_e32 v9, v17
	v_or_b32_e32 v8, 0x800, v16
	v_mov_b32_e32 v34, s3
	v_add_co_u32_e32 v78, vcc, s2, v6
	v_lshlrev_b64 v[68:69], 2, v[8:9]
	v_addc_co_u32_e32 v79, vcc, v34, v7, vcc
	global_load_dwordx4 v[34:37], v[66:67], off offset:112
	global_load_dwordx4 v[38:41], v[66:67], off offset:96
	global_load_dwordx4 v[42:45], v[66:67], off offset:80
	global_load_dwordx4 v[46:49], v[66:67], off offset:64
	global_load_dwordx4 v[50:53], v[66:67], off offset:176
	global_load_dwordx4 v[54:57], v[66:67], off offset:160
	global_load_dwordx4 v[58:61], v[66:67], off offset:144
	global_load_dwordx4 v[62:65], v[66:67], off offset:128
	global_load_dwordx4 v[0:3], v[66:67], off offset:240
	global_load_dwordx4 v[4:7], v[66:67], off offset:224
	global_load_dwordx4 v[8:11], v[66:67], off offset:208
	global_load_dwordx4 v[12:15], v[66:67], off offset:192
	v_mov_b32_e32 v80, s3
	v_mov_b32_e32 v66, s3
	s_waitcnt vmcnt(15)
	global_store_dword v[70:71], v18, off
	global_store_dword v[70:71], v19, off offset:1024
	global_store_dword v[70:71], v20, off offset:2048
	;; [unrolled: 1-line block ×3, first 2 shown]
	s_waitcnt vmcnt(18)
	global_store_dword v[72:73], v22, off
	global_store_dword v[74:75], v23, off
	;; [unrolled: 1-line block ×4, first 2 shown]
	v_or_b32_e32 v20, 0x900, v16
	v_mov_b32_e32 v21, v17
	v_add_co_u32_e32 v18, vcc, s2, v68
	v_lshlrev_b64 v[20:21], 2, v[20:21]
	v_addc_co_u32_e32 v19, vcc, v80, v69, vcc
	v_mov_b32_e32 v22, s3
	v_add_co_u32_e32 v20, vcc, s2, v20
	v_addc_co_u32_e32 v21, vcc, v22, v21, vcc
	v_or_b32_e32 v22, 0xa00, v16
	v_mov_b32_e32 v23, v17
	v_lshlrev_b64 v[22:23], 2, v[22:23]
	v_mov_b32_e32 v24, s3
	v_add_co_u32_e32 v22, vcc, s2, v22
	v_addc_co_u32_e32 v23, vcc, v24, v23, vcc
	v_or_b32_e32 v24, 0xb00, v16
	v_mov_b32_e32 v25, v17
	v_lshlrev_b64 v[24:25], 2, v[24:25]
	v_add_co_u32_e32 v24, vcc, s2, v24
	v_addc_co_u32_e32 v25, vcc, v66, v25, vcc
	s_waitcnt vmcnt(20)
	global_store_dword v[18:19], v30, off
	global_store_dword v[20:21], v31, off
	;; [unrolled: 1-line block ×4, first 2 shown]
	v_or_b32_e32 v18, 0xc00, v16
	v_mov_b32_e32 v19, v17
	v_lshlrev_b64 v[18:19], 2, v[18:19]
	v_mov_b32_e32 v20, s3
	v_add_co_u32_e32 v18, vcc, s2, v18
	v_addc_co_u32_e32 v19, vcc, v20, v19, vcc
	v_or_b32_e32 v20, 0xd00, v16
	v_mov_b32_e32 v21, v17
	v_lshlrev_b64 v[20:21], 2, v[20:21]
	v_mov_b32_e32 v22, s3
	v_add_co_u32_e32 v20, vcc, s2, v20
	v_addc_co_u32_e32 v21, vcc, v22, v21, vcc
	;; [unrolled: 6-line block ×4, first 2 shown]
	global_store_dword v[18:19], v26, off
	global_store_dword v[20:21], v27, off
	global_store_dword v[22:23], v28, off
	global_store_dword v[24:25], v29, off
	v_or_b32_e32 v18, 0x1000, v16
	v_mov_b32_e32 v19, v17
	v_lshlrev_b64 v[18:19], 2, v[18:19]
	v_mov_b32_e32 v20, s3
	v_add_co_u32_e32 v18, vcc, s2, v18
	v_addc_co_u32_e32 v19, vcc, v20, v19, vcc
	v_or_b32_e32 v20, 0x1100, v16
	v_mov_b32_e32 v21, v17
	v_lshlrev_b64 v[20:21], 2, v[20:21]
	v_mov_b32_e32 v22, s3
	v_add_co_u32_e32 v20, vcc, s2, v20
	v_addc_co_u32_e32 v21, vcc, v22, v21, vcc
	;; [unrolled: 6-line block ×4, first 2 shown]
	s_waitcnt vmcnt(24)
	global_store_dword v[18:19], v46, off
	global_store_dword v[20:21], v47, off
	global_store_dword v[22:23], v48, off
	global_store_dword v[24:25], v49, off
	v_or_b32_e32 v18, 0x1400, v16
	v_mov_b32_e32 v19, v17
	v_lshlrev_b64 v[18:19], 2, v[18:19]
	v_mov_b32_e32 v20, s3
	v_add_co_u32_e32 v18, vcc, s2, v18
	v_addc_co_u32_e32 v19, vcc, v20, v19, vcc
	v_or_b32_e32 v20, 0x1500, v16
	v_mov_b32_e32 v21, v17
	v_lshlrev_b64 v[20:21], 2, v[20:21]
	v_mov_b32_e32 v22, s3
	v_add_co_u32_e32 v20, vcc, s2, v20
	v_addc_co_u32_e32 v21, vcc, v22, v21, vcc
	v_or_b32_e32 v22, 0x1600, v16
	v_mov_b32_e32 v23, v17
	v_lshlrev_b64 v[22:23], 2, v[22:23]
	v_mov_b32_e32 v24, s3
	v_add_co_u32_e32 v22, vcc, s2, v22
	v_addc_co_u32_e32 v23, vcc, v24, v23, vcc
	v_or_b32_e32 v24, 0x1700, v16
	v_mov_b32_e32 v25, v17
	v_lshlrev_b64 v[24:25], 2, v[24:25]
	v_add_co_u32_e32 v24, vcc, s2, v24
	v_addc_co_u32_e32 v25, vcc, v26, v25, vcc
	global_store_dword v[18:19], v42, off
	global_store_dword v[20:21], v43, off
	global_store_dword v[22:23], v44, off
	global_store_dword v[24:25], v45, off
	v_or_b32_e32 v18, 0x1800, v16
	v_mov_b32_e32 v19, v17
	v_lshlrev_b64 v[18:19], 2, v[18:19]
	v_mov_b32_e32 v20, s3
	v_add_co_u32_e32 v18, vcc, s2, v18
	v_addc_co_u32_e32 v19, vcc, v20, v19, vcc
	v_or_b32_e32 v20, 0x1900, v16
	v_mov_b32_e32 v21, v17
	v_lshlrev_b64 v[20:21], 2, v[20:21]
	v_mov_b32_e32 v22, s3
	v_add_co_u32_e32 v20, vcc, s2, v20
	v_addc_co_u32_e32 v21, vcc, v22, v21, vcc
	v_or_b32_e32 v22, 0x1a00, v16
	v_mov_b32_e32 v23, v17
	v_lshlrev_b64 v[22:23], 2, v[22:23]
	v_mov_b32_e32 v24, s3
	v_add_co_u32_e32 v22, vcc, s2, v22
	v_addc_co_u32_e32 v23, vcc, v24, v23, vcc
	v_or_b32_e32 v24, 0x1b00, v16
	v_mov_b32_e32 v25, v17
	v_lshlrev_b64 v[24:25], 2, v[24:25]
	v_add_co_u32_e32 v24, vcc, s2, v24
	v_addc_co_u32_e32 v25, vcc, v26, v25, vcc
	;; [unrolled: 27-line block ×4, first 2 shown]
	s_waitcnt vmcnt(36)
	global_store_dword v[18:19], v62, off
	global_store_dword v[20:21], v63, off
	global_store_dword v[22:23], v64, off
	global_store_dword v[24:25], v65, off
	v_or_b32_e32 v18, 0x2400, v16
	v_mov_b32_e32 v19, v17
	v_lshlrev_b64 v[18:19], 2, v[18:19]
	v_mov_b32_e32 v20, s3
	v_add_co_u32_e32 v18, vcc, s2, v18
	v_addc_co_u32_e32 v19, vcc, v20, v19, vcc
	v_or_b32_e32 v20, 0x2500, v16
	v_mov_b32_e32 v21, v17
	v_lshlrev_b64 v[20:21], 2, v[20:21]
	v_mov_b32_e32 v22, s3
	v_add_co_u32_e32 v20, vcc, s2, v20
	v_addc_co_u32_e32 v21, vcc, v22, v21, vcc
	v_or_b32_e32 v22, 0x2600, v16
	v_mov_b32_e32 v23, v17
	v_lshlrev_b64 v[22:23], 2, v[22:23]
	v_mov_b32_e32 v24, s3
	v_add_co_u32_e32 v22, vcc, s2, v22
	v_addc_co_u32_e32 v23, vcc, v24, v23, vcc
	v_or_b32_e32 v24, 0x2700, v16
	v_mov_b32_e32 v25, v17
	v_lshlrev_b64 v[24:25], 2, v[24:25]
	v_add_co_u32_e32 v24, vcc, s2, v24
	v_addc_co_u32_e32 v25, vcc, v26, v25, vcc
	global_store_dword v[18:19], v58, off
	global_store_dword v[20:21], v59, off
	global_store_dword v[22:23], v60, off
	global_store_dword v[24:25], v61, off
	v_or_b32_e32 v18, 0x2800, v16
	v_mov_b32_e32 v19, v17
	v_lshlrev_b64 v[18:19], 2, v[18:19]
	v_mov_b32_e32 v20, s3
	v_add_co_u32_e32 v18, vcc, s2, v18
	v_addc_co_u32_e32 v19, vcc, v20, v19, vcc
	v_or_b32_e32 v20, 0x2900, v16
	v_mov_b32_e32 v21, v17
	v_lshlrev_b64 v[20:21], 2, v[20:21]
	v_mov_b32_e32 v22, s3
	v_add_co_u32_e32 v20, vcc, s2, v20
	v_addc_co_u32_e32 v21, vcc, v22, v21, vcc
	v_or_b32_e32 v22, 0x2a00, v16
	v_mov_b32_e32 v23, v17
	v_lshlrev_b64 v[22:23], 2, v[22:23]
	v_mov_b32_e32 v24, s3
	v_add_co_u32_e32 v22, vcc, s2, v22
	v_addc_co_u32_e32 v23, vcc, v24, v23, vcc
	v_or_b32_e32 v24, 0x2b00, v16
	v_mov_b32_e32 v25, v17
	v_lshlrev_b64 v[24:25], 2, v[24:25]
	v_add_co_u32_e32 v24, vcc, s2, v24
	v_addc_co_u32_e32 v25, vcc, v26, v25, vcc
	global_store_dword v[18:19], v54, off
	global_store_dword v[20:21], v55, off
	global_store_dword v[22:23], v56, off
	global_store_dword v[24:25], v57, off
	v_or_b32_e32 v18, 0x2c00, v16
	v_mov_b32_e32 v19, v17
	v_lshlrev_b64 v[18:19], 2, v[18:19]
	v_mov_b32_e32 v20, s3
	v_add_co_u32_e32 v18, vcc, s2, v18
	v_addc_co_u32_e32 v19, vcc, v20, v19, vcc
	v_or_b32_e32 v20, 0x2d00, v16
	v_mov_b32_e32 v21, v17
	v_lshlrev_b64 v[20:21], 2, v[20:21]
	v_mov_b32_e32 v22, s3
	v_add_co_u32_e32 v20, vcc, s2, v20
	v_addc_co_u32_e32 v21, vcc, v22, v21, vcc
	v_or_b32_e32 v22, 0x2e00, v16
	v_mov_b32_e32 v23, v17
	v_lshlrev_b64 v[22:23], 2, v[22:23]
	v_mov_b32_e32 v24, s3
	v_add_co_u32_e32 v22, vcc, s2, v22
	v_addc_co_u32_e32 v23, vcc, v24, v23, vcc
	v_or_b32_e32 v24, 0x2f00, v16
	v_mov_b32_e32 v25, v17
	v_lshlrev_b64 v[24:25], 2, v[24:25]
	v_add_co_u32_e32 v24, vcc, s2, v24
	v_addc_co_u32_e32 v25, vcc, v26, v25, vcc
	global_store_dword v[18:19], v50, off
	global_store_dword v[20:21], v51, off
	global_store_dword v[22:23], v52, off
	global_store_dword v[24:25], v53, off
	v_or_b32_e32 v18, 0x3000, v16
	v_mov_b32_e32 v19, v17
	v_lshlrev_b64 v[18:19], 2, v[18:19]
	v_mov_b32_e32 v20, s3
	v_add_co_u32_e32 v18, vcc, s2, v18
	v_addc_co_u32_e32 v19, vcc, v20, v19, vcc
	v_or_b32_e32 v20, 0x3100, v16
	v_mov_b32_e32 v21, v17
	v_lshlrev_b64 v[20:21], 2, v[20:21]
	v_mov_b32_e32 v22, s3
	v_add_co_u32_e32 v20, vcc, s2, v20
	v_addc_co_u32_e32 v21, vcc, v22, v21, vcc
	v_or_b32_e32 v22, 0x3200, v16
	v_mov_b32_e32 v23, v17
	v_lshlrev_b64 v[22:23], 2, v[22:23]
	v_mov_b32_e32 v24, s3
	v_add_co_u32_e32 v22, vcc, s2, v22
	v_addc_co_u32_e32 v23, vcc, v24, v23, vcc
	v_or_b32_e32 v24, 0x3300, v16
	v_mov_b32_e32 v25, v17
	v_lshlrev_b64 v[24:25], 2, v[24:25]
	v_add_co_u32_e32 v24, vcc, s2, v24
	v_addc_co_u32_e32 v25, vcc, v26, v25, vcc
	s_waitcnt vmcnt(48)
	global_store_dword v[18:19], v12, off
	global_store_dword v[20:21], v13, off
	;; [unrolled: 1-line block ×4, first 2 shown]
	v_or_b32_e32 v12, 0x3400, v16
	v_mov_b32_e32 v13, v17
	v_lshlrev_b64 v[12:13], 2, v[12:13]
	v_mov_b32_e32 v14, s3
	v_add_co_u32_e32 v12, vcc, s2, v12
	v_addc_co_u32_e32 v13, vcc, v14, v13, vcc
	global_store_dword v[12:13], v8, off
	v_or_b32_e32 v12, 0x3500, v16
	v_mov_b32_e32 v13, v17
	v_lshlrev_b64 v[12:13], 2, v[12:13]
	v_mov_b32_e32 v8, s3
	v_add_co_u32_e32 v12, vcc, s2, v12
	v_addc_co_u32_e32 v13, vcc, v8, v13, vcc
	global_store_dword v[12:13], v9, off
	;; [unrolled: 7-line block ×4, first 2 shown]
	v_or_b32_e32 v8, 0x3800, v16
	v_mov_b32_e32 v9, v17
	v_lshlrev_b64 v[8:9], 2, v[8:9]
	v_add_co_u32_e32 v8, vcc, s2, v8
	v_addc_co_u32_e32 v9, vcc, v10, v9, vcc
	global_store_dword v[8:9], v4, off
	v_or_b32_e32 v8, 0x3900, v16
	v_mov_b32_e32 v9, v17
	v_lshlrev_b64 v[8:9], 2, v[8:9]
	v_mov_b32_e32 v4, s3
	v_add_co_u32_e32 v8, vcc, s2, v8
	v_addc_co_u32_e32 v9, vcc, v4, v9, vcc
	global_store_dword v[8:9], v5, off
	v_or_b32_e32 v4, 0x3a00, v16
	v_mov_b32_e32 v5, v17
	v_lshlrev_b64 v[4:5], 2, v[4:5]
	v_mov_b32_e32 v8, s3
	;; [unrolled: 7-line block ×3, first 2 shown]
	v_add_co_u32_e32 v4, vcc, s2, v4
	v_addc_co_u32_e32 v5, vcc, v6, v5, vcc
	global_store_dword v[4:5], v7, off
	v_or_b32_e32 v4, 0x3c00, v16
	v_mov_b32_e32 v5, v17
	v_lshlrev_b64 v[4:5], 2, v[4:5]
	v_add_co_u32_e32 v4, vcc, s2, v4
	v_addc_co_u32_e32 v5, vcc, v6, v5, vcc
	global_store_dword v[4:5], v0, off
	v_or_b32_e32 v4, 0x3d00, v16
	v_mov_b32_e32 v5, v17
	v_lshlrev_b64 v[4:5], 2, v[4:5]
	v_mov_b32_e32 v0, s3
	v_add_co_u32_e32 v4, vcc, s2, v4
	v_addc_co_u32_e32 v5, vcc, v0, v5, vcc
	global_store_dword v[4:5], v1, off
	v_or_b32_e32 v0, 0x3e00, v16
	v_mov_b32_e32 v1, v17
	v_lshlrev_b64 v[0:1], 2, v[0:1]
	v_mov_b32_e32 v4, s3
	v_add_co_u32_e32 v0, vcc, s2, v0
	v_addc_co_u32_e32 v1, vcc, v4, v1, vcc
	v_or_b32_e32 v16, 0x3f00, v16
	global_store_dword v[0:1], v2, off
	v_lshlrev_b64 v[0:1], 2, v[16:17]
	v_mov_b32_e32 v2, s3
	v_add_co_u32_e32 v0, vcc, s2, v0
	v_addc_co_u32_e32 v1, vcc, v2, v1, vcc
	global_store_dword v[0:1], v3, off
	s_endpgm
	.section	.rodata,"a",@progbits
	.p2align	6, 0x0
	.amdhsa_kernel _Z16warp_load_kernelILj256ELj64ELj64ELN6hipcub17WarpLoadAlgorithmE2EiEvPT3_S3_
		.amdhsa_group_segment_fixed_size 0
		.amdhsa_private_segment_fixed_size 0
		.amdhsa_kernarg_size 16
		.amdhsa_user_sgpr_count 6
		.amdhsa_user_sgpr_private_segment_buffer 1
		.amdhsa_user_sgpr_dispatch_ptr 0
		.amdhsa_user_sgpr_queue_ptr 0
		.amdhsa_user_sgpr_kernarg_segment_ptr 1
		.amdhsa_user_sgpr_dispatch_id 0
		.amdhsa_user_sgpr_flat_scratch_init 0
		.amdhsa_user_sgpr_private_segment_size 0
		.amdhsa_uses_dynamic_stack 0
		.amdhsa_system_sgpr_private_segment_wavefront_offset 0
		.amdhsa_system_sgpr_workgroup_id_x 1
		.amdhsa_system_sgpr_workgroup_id_y 0
		.amdhsa_system_sgpr_workgroup_id_z 0
		.amdhsa_system_sgpr_workgroup_info 0
		.amdhsa_system_vgpr_workitem_id 0
		.amdhsa_next_free_vgpr 81
		.amdhsa_next_free_sgpr 7
		.amdhsa_reserve_vcc 1
		.amdhsa_reserve_flat_scratch 0
		.amdhsa_float_round_mode_32 0
		.amdhsa_float_round_mode_16_64 0
		.amdhsa_float_denorm_mode_32 3
		.amdhsa_float_denorm_mode_16_64 3
		.amdhsa_dx10_clamp 1
		.amdhsa_ieee_mode 1
		.amdhsa_fp16_overflow 0
		.amdhsa_exception_fp_ieee_invalid_op 0
		.amdhsa_exception_fp_denorm_src 0
		.amdhsa_exception_fp_ieee_div_zero 0
		.amdhsa_exception_fp_ieee_overflow 0
		.amdhsa_exception_fp_ieee_underflow 0
		.amdhsa_exception_fp_ieee_inexact 0
		.amdhsa_exception_int_div_zero 0
	.end_amdhsa_kernel
	.section	.text._Z16warp_load_kernelILj256ELj64ELj64ELN6hipcub17WarpLoadAlgorithmE2EiEvPT3_S3_,"axG",@progbits,_Z16warp_load_kernelILj256ELj64ELj64ELN6hipcub17WarpLoadAlgorithmE2EiEvPT3_S3_,comdat
.Lfunc_end55:
	.size	_Z16warp_load_kernelILj256ELj64ELj64ELN6hipcub17WarpLoadAlgorithmE2EiEvPT3_S3_, .Lfunc_end55-_Z16warp_load_kernelILj256ELj64ELj64ELN6hipcub17WarpLoadAlgorithmE2EiEvPT3_S3_
                                        ; -- End function
	.set _Z16warp_load_kernelILj256ELj64ELj64ELN6hipcub17WarpLoadAlgorithmE2EiEvPT3_S3_.num_vgpr, 81
	.set _Z16warp_load_kernelILj256ELj64ELj64ELN6hipcub17WarpLoadAlgorithmE2EiEvPT3_S3_.num_agpr, 0
	.set _Z16warp_load_kernelILj256ELj64ELj64ELN6hipcub17WarpLoadAlgorithmE2EiEvPT3_S3_.numbered_sgpr, 7
	.set _Z16warp_load_kernelILj256ELj64ELj64ELN6hipcub17WarpLoadAlgorithmE2EiEvPT3_S3_.num_named_barrier, 0
	.set _Z16warp_load_kernelILj256ELj64ELj64ELN6hipcub17WarpLoadAlgorithmE2EiEvPT3_S3_.private_seg_size, 0
	.set _Z16warp_load_kernelILj256ELj64ELj64ELN6hipcub17WarpLoadAlgorithmE2EiEvPT3_S3_.uses_vcc, 1
	.set _Z16warp_load_kernelILj256ELj64ELj64ELN6hipcub17WarpLoadAlgorithmE2EiEvPT3_S3_.uses_flat_scratch, 0
	.set _Z16warp_load_kernelILj256ELj64ELj64ELN6hipcub17WarpLoadAlgorithmE2EiEvPT3_S3_.has_dyn_sized_stack, 0
	.set _Z16warp_load_kernelILj256ELj64ELj64ELN6hipcub17WarpLoadAlgorithmE2EiEvPT3_S3_.has_recursion, 0
	.set _Z16warp_load_kernelILj256ELj64ELj64ELN6hipcub17WarpLoadAlgorithmE2EiEvPT3_S3_.has_indirect_call, 0
	.section	.AMDGPU.csdata,"",@progbits
; Kernel info:
; codeLenInByte = 2652
; TotalNumSgprs: 11
; NumVgprs: 81
; ScratchSize: 0
; MemoryBound: 0
; FloatMode: 240
; IeeeMode: 1
; LDSByteSize: 0 bytes/workgroup (compile time only)
; SGPRBlocks: 1
; VGPRBlocks: 20
; NumSGPRsForWavesPerEU: 11
; NumVGPRsForWavesPerEU: 81
; Occupancy: 3
; WaveLimiterHint : 1
; COMPUTE_PGM_RSRC2:SCRATCH_EN: 0
; COMPUTE_PGM_RSRC2:USER_SGPR: 6
; COMPUTE_PGM_RSRC2:TRAP_HANDLER: 0
; COMPUTE_PGM_RSRC2:TGID_X_EN: 1
; COMPUTE_PGM_RSRC2:TGID_Y_EN: 0
; COMPUTE_PGM_RSRC2:TGID_Z_EN: 0
; COMPUTE_PGM_RSRC2:TIDIG_COMP_CNT: 0
	.section	.text._Z16warp_load_kernelILj256ELj4ELj64ELN6hipcub17WarpLoadAlgorithmE0EdEvPT3_S3_,"axG",@progbits,_Z16warp_load_kernelILj256ELj4ELj64ELN6hipcub17WarpLoadAlgorithmE0EdEvPT3_S3_,comdat
	.protected	_Z16warp_load_kernelILj256ELj4ELj64ELN6hipcub17WarpLoadAlgorithmE0EdEvPT3_S3_ ; -- Begin function _Z16warp_load_kernelILj256ELj4ELj64ELN6hipcub17WarpLoadAlgorithmE0EdEvPT3_S3_
	.globl	_Z16warp_load_kernelILj256ELj4ELj64ELN6hipcub17WarpLoadAlgorithmE0EdEvPT3_S3_
	.p2align	8
	.type	_Z16warp_load_kernelILj256ELj4ELj64ELN6hipcub17WarpLoadAlgorithmE0EdEvPT3_S3_,@function
_Z16warp_load_kernelILj256ELj4ELj64ELN6hipcub17WarpLoadAlgorithmE0EdEvPT3_S3_: ; @_Z16warp_load_kernelILj256ELj4ELj64ELN6hipcub17WarpLoadAlgorithmE0EdEvPT3_S3_
; %bb.0:
	v_mbcnt_lo_u32_b32 v1, -1, 0
	s_load_dwordx4 s[0:3], s[4:5], 0x0
	v_mbcnt_hi_u32_b32 v3, -1, v1
	v_lshlrev_b32_e32 v1, 2, v0
	s_lshl_b32 s4, s6, 10
	v_and_b32_e32 v1, 0x300, v1
	v_or_b32_e32 v9, s4, v1
	v_mov_b32_e32 v10, 0
	v_lshlrev_b64 v[1:2], 3, v[9:10]
	s_waitcnt lgkmcnt(0)
	v_mov_b32_e32 v4, s1
	v_add_co_u32_e32 v1, vcc, s0, v1
	v_addc_co_u32_e32 v2, vcc, v4, v2, vcc
	v_lshlrev_b32_e32 v3, 5, v3
	v_add_co_u32_e32 v11, vcc, v1, v3
	v_addc_co_u32_e32 v12, vcc, 0, v2, vcc
	global_load_dwordx4 v[1:4], v[11:12], off
	global_load_dwordx4 v[5:8], v[11:12], off offset:16
	v_or_b32_e32 v9, s4, v0
	v_lshlrev_b64 v[15:16], 3, v[9:10]
	v_mov_b32_e32 v12, v10
	v_or_b32_e32 v11, 0x100, v9
	v_mov_b32_e32 v0, s3
	v_lshlrev_b64 v[11:12], 3, v[11:12]
	v_add_co_u32_e32 v15, vcc, s2, v15
	v_mov_b32_e32 v14, v10
	v_or_b32_e32 v13, 0x200, v9
	v_addc_co_u32_e32 v16, vcc, v0, v16, vcc
	v_mov_b32_e32 v17, s3
	v_lshlrev_b64 v[13:14], 3, v[13:14]
	v_add_co_u32_e32 v11, vcc, s2, v11
	v_or_b32_e32 v9, 0x300, v9
	v_addc_co_u32_e32 v12, vcc, v17, v12, vcc
	v_lshlrev_b64 v[9:10], 3, v[9:10]
	v_add_co_u32_e32 v13, vcc, s2, v13
	v_addc_co_u32_e32 v14, vcc, v0, v14, vcc
	v_add_co_u32_e32 v9, vcc, s2, v9
	v_addc_co_u32_e32 v10, vcc, v17, v10, vcc
	s_waitcnt vmcnt(1)
	global_store_dwordx2 v[15:16], v[1:2], off
	global_store_dwordx2 v[11:12], v[3:4], off
	s_waitcnt vmcnt(2)
	global_store_dwordx2 v[13:14], v[5:6], off
	global_store_dwordx2 v[9:10], v[7:8], off
	s_endpgm
	.section	.rodata,"a",@progbits
	.p2align	6, 0x0
	.amdhsa_kernel _Z16warp_load_kernelILj256ELj4ELj64ELN6hipcub17WarpLoadAlgorithmE0EdEvPT3_S3_
		.amdhsa_group_segment_fixed_size 0
		.amdhsa_private_segment_fixed_size 0
		.amdhsa_kernarg_size 16
		.amdhsa_user_sgpr_count 6
		.amdhsa_user_sgpr_private_segment_buffer 1
		.amdhsa_user_sgpr_dispatch_ptr 0
		.amdhsa_user_sgpr_queue_ptr 0
		.amdhsa_user_sgpr_kernarg_segment_ptr 1
		.amdhsa_user_sgpr_dispatch_id 0
		.amdhsa_user_sgpr_flat_scratch_init 0
		.amdhsa_user_sgpr_private_segment_size 0
		.amdhsa_uses_dynamic_stack 0
		.amdhsa_system_sgpr_private_segment_wavefront_offset 0
		.amdhsa_system_sgpr_workgroup_id_x 1
		.amdhsa_system_sgpr_workgroup_id_y 0
		.amdhsa_system_sgpr_workgroup_id_z 0
		.amdhsa_system_sgpr_workgroup_info 0
		.amdhsa_system_vgpr_workitem_id 0
		.amdhsa_next_free_vgpr 18
		.amdhsa_next_free_sgpr 7
		.amdhsa_reserve_vcc 1
		.amdhsa_reserve_flat_scratch 0
		.amdhsa_float_round_mode_32 0
		.amdhsa_float_round_mode_16_64 0
		.amdhsa_float_denorm_mode_32 3
		.amdhsa_float_denorm_mode_16_64 3
		.amdhsa_dx10_clamp 1
		.amdhsa_ieee_mode 1
		.amdhsa_fp16_overflow 0
		.amdhsa_exception_fp_ieee_invalid_op 0
		.amdhsa_exception_fp_denorm_src 0
		.amdhsa_exception_fp_ieee_div_zero 0
		.amdhsa_exception_fp_ieee_overflow 0
		.amdhsa_exception_fp_ieee_underflow 0
		.amdhsa_exception_fp_ieee_inexact 0
		.amdhsa_exception_int_div_zero 0
	.end_amdhsa_kernel
	.section	.text._Z16warp_load_kernelILj256ELj4ELj64ELN6hipcub17WarpLoadAlgorithmE0EdEvPT3_S3_,"axG",@progbits,_Z16warp_load_kernelILj256ELj4ELj64ELN6hipcub17WarpLoadAlgorithmE0EdEvPT3_S3_,comdat
.Lfunc_end56:
	.size	_Z16warp_load_kernelILj256ELj4ELj64ELN6hipcub17WarpLoadAlgorithmE0EdEvPT3_S3_, .Lfunc_end56-_Z16warp_load_kernelILj256ELj4ELj64ELN6hipcub17WarpLoadAlgorithmE0EdEvPT3_S3_
                                        ; -- End function
	.set _Z16warp_load_kernelILj256ELj4ELj64ELN6hipcub17WarpLoadAlgorithmE0EdEvPT3_S3_.num_vgpr, 18
	.set _Z16warp_load_kernelILj256ELj4ELj64ELN6hipcub17WarpLoadAlgorithmE0EdEvPT3_S3_.num_agpr, 0
	.set _Z16warp_load_kernelILj256ELj4ELj64ELN6hipcub17WarpLoadAlgorithmE0EdEvPT3_S3_.numbered_sgpr, 7
	.set _Z16warp_load_kernelILj256ELj4ELj64ELN6hipcub17WarpLoadAlgorithmE0EdEvPT3_S3_.num_named_barrier, 0
	.set _Z16warp_load_kernelILj256ELj4ELj64ELN6hipcub17WarpLoadAlgorithmE0EdEvPT3_S3_.private_seg_size, 0
	.set _Z16warp_load_kernelILj256ELj4ELj64ELN6hipcub17WarpLoadAlgorithmE0EdEvPT3_S3_.uses_vcc, 1
	.set _Z16warp_load_kernelILj256ELj4ELj64ELN6hipcub17WarpLoadAlgorithmE0EdEvPT3_S3_.uses_flat_scratch, 0
	.set _Z16warp_load_kernelILj256ELj4ELj64ELN6hipcub17WarpLoadAlgorithmE0EdEvPT3_S3_.has_dyn_sized_stack, 0
	.set _Z16warp_load_kernelILj256ELj4ELj64ELN6hipcub17WarpLoadAlgorithmE0EdEvPT3_S3_.has_recursion, 0
	.set _Z16warp_load_kernelILj256ELj4ELj64ELN6hipcub17WarpLoadAlgorithmE0EdEvPT3_S3_.has_indirect_call, 0
	.section	.AMDGPU.csdata,"",@progbits
; Kernel info:
; codeLenInByte = 252
; TotalNumSgprs: 11
; NumVgprs: 18
; ScratchSize: 0
; MemoryBound: 0
; FloatMode: 240
; IeeeMode: 1
; LDSByteSize: 0 bytes/workgroup (compile time only)
; SGPRBlocks: 1
; VGPRBlocks: 4
; NumSGPRsForWavesPerEU: 11
; NumVGPRsForWavesPerEU: 18
; Occupancy: 10
; WaveLimiterHint : 0
; COMPUTE_PGM_RSRC2:SCRATCH_EN: 0
; COMPUTE_PGM_RSRC2:USER_SGPR: 6
; COMPUTE_PGM_RSRC2:TRAP_HANDLER: 0
; COMPUTE_PGM_RSRC2:TGID_X_EN: 1
; COMPUTE_PGM_RSRC2:TGID_Y_EN: 0
; COMPUTE_PGM_RSRC2:TGID_Z_EN: 0
; COMPUTE_PGM_RSRC2:TIDIG_COMP_CNT: 0
	.section	.text._Z16warp_load_kernelILj256ELj4ELj64ELN6hipcub17WarpLoadAlgorithmE1EdEvPT3_S3_,"axG",@progbits,_Z16warp_load_kernelILj256ELj4ELj64ELN6hipcub17WarpLoadAlgorithmE1EdEvPT3_S3_,comdat
	.protected	_Z16warp_load_kernelILj256ELj4ELj64ELN6hipcub17WarpLoadAlgorithmE1EdEvPT3_S3_ ; -- Begin function _Z16warp_load_kernelILj256ELj4ELj64ELN6hipcub17WarpLoadAlgorithmE1EdEvPT3_S3_
	.globl	_Z16warp_load_kernelILj256ELj4ELj64ELN6hipcub17WarpLoadAlgorithmE1EdEvPT3_S3_
	.p2align	8
	.type	_Z16warp_load_kernelILj256ELj4ELj64ELN6hipcub17WarpLoadAlgorithmE1EdEvPT3_S3_,@function
_Z16warp_load_kernelILj256ELj4ELj64ELN6hipcub17WarpLoadAlgorithmE1EdEvPT3_S3_: ; @_Z16warp_load_kernelILj256ELj4ELj64ELN6hipcub17WarpLoadAlgorithmE1EdEvPT3_S3_
; %bb.0:
	v_mbcnt_lo_u32_b32 v1, -1, 0
	s_load_dwordx4 s[0:3], s[4:5], 0x0
	v_mbcnt_hi_u32_b32 v5, -1, v1
	v_lshlrev_b32_e32 v1, 2, v0
	s_lshl_b32 s4, s6, 10
	v_and_b32_e32 v1, 0x300, v1
	v_or_b32_e32 v1, s4, v1
	v_mov_b32_e32 v2, 0
	v_lshlrev_b64 v[3:4], 3, v[1:2]
	s_waitcnt lgkmcnt(0)
	v_mov_b32_e32 v1, s1
	v_add_co_u32_e32 v3, vcc, s0, v3
	v_addc_co_u32_e32 v1, vcc, v1, v4, vcc
	v_lshlrev_b32_e32 v4, 3, v5
	v_add_co_u32_e32 v3, vcc, v3, v4
	v_lshlrev_b32_e32 v4, 5, v5
	v_addc_co_u32_e32 v1, vcc, 0, v1, vcc
	v_and_b32_e32 v4, 0x800, v4
	v_add_co_u32_e32 v3, vcc, v3, v4
	v_addc_co_u32_e32 v4, vcc, 0, v1, vcc
	global_load_dwordx2 v[5:6], v[3:4], off
	global_load_dwordx2 v[7:8], v[3:4], off offset:512
	global_load_dwordx2 v[9:10], v[3:4], off offset:1024
	;; [unrolled: 1-line block ×3, first 2 shown]
	v_or_b32_e32 v1, s4, v0
	v_lshlrev_b64 v[15:16], 3, v[1:2]
	v_mov_b32_e32 v4, v2
	v_or_b32_e32 v3, 0x100, v1
	v_mov_b32_e32 v0, s3
	v_lshlrev_b64 v[3:4], 3, v[3:4]
	v_add_co_u32_e32 v15, vcc, s2, v15
	v_mov_b32_e32 v14, v2
	v_or_b32_e32 v13, 0x200, v1
	v_or_b32_e32 v1, 0x300, v1
	v_addc_co_u32_e32 v16, vcc, v0, v16, vcc
	v_mov_b32_e32 v17, s3
	v_lshlrev_b64 v[13:14], 3, v[13:14]
	v_lshlrev_b64 v[0:1], 3, v[1:2]
	v_add_co_u32_e32 v2, vcc, s2, v3
	v_addc_co_u32_e32 v3, vcc, v17, v4, vcc
	v_mov_b32_e32 v18, s3
	v_add_co_u32_e32 v13, vcc, s2, v13
	v_addc_co_u32_e32 v14, vcc, v18, v14, vcc
	v_mov_b32_e32 v4, s3
	v_add_co_u32_e32 v0, vcc, s2, v0
	v_addc_co_u32_e32 v1, vcc, v4, v1, vcc
	s_waitcnt vmcnt(3)
	global_store_dwordx2 v[15:16], v[5:6], off
	s_waitcnt vmcnt(3)
	global_store_dwordx2 v[2:3], v[7:8], off
	s_waitcnt vmcnt(3)
	global_store_dwordx2 v[13:14], v[9:10], off
	s_waitcnt vmcnt(3)
	global_store_dwordx2 v[0:1], v[11:12], off
	s_endpgm
	.section	.rodata,"a",@progbits
	.p2align	6, 0x0
	.amdhsa_kernel _Z16warp_load_kernelILj256ELj4ELj64ELN6hipcub17WarpLoadAlgorithmE1EdEvPT3_S3_
		.amdhsa_group_segment_fixed_size 0
		.amdhsa_private_segment_fixed_size 0
		.amdhsa_kernarg_size 16
		.amdhsa_user_sgpr_count 6
		.amdhsa_user_sgpr_private_segment_buffer 1
		.amdhsa_user_sgpr_dispatch_ptr 0
		.amdhsa_user_sgpr_queue_ptr 0
		.amdhsa_user_sgpr_kernarg_segment_ptr 1
		.amdhsa_user_sgpr_dispatch_id 0
		.amdhsa_user_sgpr_flat_scratch_init 0
		.amdhsa_user_sgpr_private_segment_size 0
		.amdhsa_uses_dynamic_stack 0
		.amdhsa_system_sgpr_private_segment_wavefront_offset 0
		.amdhsa_system_sgpr_workgroup_id_x 1
		.amdhsa_system_sgpr_workgroup_id_y 0
		.amdhsa_system_sgpr_workgroup_id_z 0
		.amdhsa_system_sgpr_workgroup_info 0
		.amdhsa_system_vgpr_workitem_id 0
		.amdhsa_next_free_vgpr 19
		.amdhsa_next_free_sgpr 7
		.amdhsa_reserve_vcc 1
		.amdhsa_reserve_flat_scratch 0
		.amdhsa_float_round_mode_32 0
		.amdhsa_float_round_mode_16_64 0
		.amdhsa_float_denorm_mode_32 3
		.amdhsa_float_denorm_mode_16_64 3
		.amdhsa_dx10_clamp 1
		.amdhsa_ieee_mode 1
		.amdhsa_fp16_overflow 0
		.amdhsa_exception_fp_ieee_invalid_op 0
		.amdhsa_exception_fp_denorm_src 0
		.amdhsa_exception_fp_ieee_div_zero 0
		.amdhsa_exception_fp_ieee_overflow 0
		.amdhsa_exception_fp_ieee_underflow 0
		.amdhsa_exception_fp_ieee_inexact 0
		.amdhsa_exception_int_div_zero 0
	.end_amdhsa_kernel
	.section	.text._Z16warp_load_kernelILj256ELj4ELj64ELN6hipcub17WarpLoadAlgorithmE1EdEvPT3_S3_,"axG",@progbits,_Z16warp_load_kernelILj256ELj4ELj64ELN6hipcub17WarpLoadAlgorithmE1EdEvPT3_S3_,comdat
.Lfunc_end57:
	.size	_Z16warp_load_kernelILj256ELj4ELj64ELN6hipcub17WarpLoadAlgorithmE1EdEvPT3_S3_, .Lfunc_end57-_Z16warp_load_kernelILj256ELj4ELj64ELN6hipcub17WarpLoadAlgorithmE1EdEvPT3_S3_
                                        ; -- End function
	.set _Z16warp_load_kernelILj256ELj4ELj64ELN6hipcub17WarpLoadAlgorithmE1EdEvPT3_S3_.num_vgpr, 19
	.set _Z16warp_load_kernelILj256ELj4ELj64ELN6hipcub17WarpLoadAlgorithmE1EdEvPT3_S3_.num_agpr, 0
	.set _Z16warp_load_kernelILj256ELj4ELj64ELN6hipcub17WarpLoadAlgorithmE1EdEvPT3_S3_.numbered_sgpr, 7
	.set _Z16warp_load_kernelILj256ELj4ELj64ELN6hipcub17WarpLoadAlgorithmE1EdEvPT3_S3_.num_named_barrier, 0
	.set _Z16warp_load_kernelILj256ELj4ELj64ELN6hipcub17WarpLoadAlgorithmE1EdEvPT3_S3_.private_seg_size, 0
	.set _Z16warp_load_kernelILj256ELj4ELj64ELN6hipcub17WarpLoadAlgorithmE1EdEvPT3_S3_.uses_vcc, 1
	.set _Z16warp_load_kernelILj256ELj4ELj64ELN6hipcub17WarpLoadAlgorithmE1EdEvPT3_S3_.uses_flat_scratch, 0
	.set _Z16warp_load_kernelILj256ELj4ELj64ELN6hipcub17WarpLoadAlgorithmE1EdEvPT3_S3_.has_dyn_sized_stack, 0
	.set _Z16warp_load_kernelILj256ELj4ELj64ELN6hipcub17WarpLoadAlgorithmE1EdEvPT3_S3_.has_recursion, 0
	.set _Z16warp_load_kernelILj256ELj4ELj64ELN6hipcub17WarpLoadAlgorithmE1EdEvPT3_S3_.has_indirect_call, 0
	.section	.AMDGPU.csdata,"",@progbits
; Kernel info:
; codeLenInByte = 304
; TotalNumSgprs: 11
; NumVgprs: 19
; ScratchSize: 0
; MemoryBound: 0
; FloatMode: 240
; IeeeMode: 1
; LDSByteSize: 0 bytes/workgroup (compile time only)
; SGPRBlocks: 1
; VGPRBlocks: 4
; NumSGPRsForWavesPerEU: 11
; NumVGPRsForWavesPerEU: 19
; Occupancy: 10
; WaveLimiterHint : 1
; COMPUTE_PGM_RSRC2:SCRATCH_EN: 0
; COMPUTE_PGM_RSRC2:USER_SGPR: 6
; COMPUTE_PGM_RSRC2:TRAP_HANDLER: 0
; COMPUTE_PGM_RSRC2:TGID_X_EN: 1
; COMPUTE_PGM_RSRC2:TGID_Y_EN: 0
; COMPUTE_PGM_RSRC2:TGID_Z_EN: 0
; COMPUTE_PGM_RSRC2:TIDIG_COMP_CNT: 0
	.section	.text._Z16warp_load_kernelILj256ELj4ELj64ELN6hipcub17WarpLoadAlgorithmE2EdEvPT3_S3_,"axG",@progbits,_Z16warp_load_kernelILj256ELj4ELj64ELN6hipcub17WarpLoadAlgorithmE2EdEvPT3_S3_,comdat
	.protected	_Z16warp_load_kernelILj256ELj4ELj64ELN6hipcub17WarpLoadAlgorithmE2EdEvPT3_S3_ ; -- Begin function _Z16warp_load_kernelILj256ELj4ELj64ELN6hipcub17WarpLoadAlgorithmE2EdEvPT3_S3_
	.globl	_Z16warp_load_kernelILj256ELj4ELj64ELN6hipcub17WarpLoadAlgorithmE2EdEvPT3_S3_
	.p2align	8
	.type	_Z16warp_load_kernelILj256ELj4ELj64ELN6hipcub17WarpLoadAlgorithmE2EdEvPT3_S3_,@function
_Z16warp_load_kernelILj256ELj4ELj64ELN6hipcub17WarpLoadAlgorithmE2EdEvPT3_S3_: ; @_Z16warp_load_kernelILj256ELj4ELj64ELN6hipcub17WarpLoadAlgorithmE2EdEvPT3_S3_
; %bb.0:
	v_mbcnt_lo_u32_b32 v1, -1, 0
	s_load_dwordx4 s[0:3], s[4:5], 0x0
	v_mbcnt_hi_u32_b32 v3, -1, v1
	v_lshlrev_b32_e32 v1, 2, v0
	s_lshl_b32 s4, s6, 10
	v_and_b32_e32 v1, 0x300, v1
	v_or_b32_e32 v9, s4, v1
	v_mov_b32_e32 v10, 0
	v_lshlrev_b64 v[1:2], 3, v[9:10]
	s_waitcnt lgkmcnt(0)
	v_mov_b32_e32 v4, s1
	v_add_co_u32_e32 v1, vcc, s0, v1
	v_addc_co_u32_e32 v2, vcc, v4, v2, vcc
	v_lshlrev_b32_e32 v3, 5, v3
	v_add_co_u32_e32 v11, vcc, v1, v3
	v_addc_co_u32_e32 v12, vcc, 0, v2, vcc
	global_load_dwordx4 v[1:4], v[11:12], off
	global_load_dwordx4 v[5:8], v[11:12], off offset:16
	v_or_b32_e32 v9, s4, v0
	v_lshlrev_b64 v[15:16], 3, v[9:10]
	v_mov_b32_e32 v12, v10
	v_or_b32_e32 v11, 0x100, v9
	v_mov_b32_e32 v0, s3
	v_lshlrev_b64 v[11:12], 3, v[11:12]
	v_add_co_u32_e32 v15, vcc, s2, v15
	v_mov_b32_e32 v14, v10
	v_or_b32_e32 v13, 0x200, v9
	v_addc_co_u32_e32 v16, vcc, v0, v16, vcc
	v_mov_b32_e32 v17, s3
	v_lshlrev_b64 v[13:14], 3, v[13:14]
	v_add_co_u32_e32 v11, vcc, s2, v11
	v_or_b32_e32 v9, 0x300, v9
	v_addc_co_u32_e32 v12, vcc, v17, v12, vcc
	v_lshlrev_b64 v[9:10], 3, v[9:10]
	v_add_co_u32_e32 v13, vcc, s2, v13
	v_addc_co_u32_e32 v14, vcc, v0, v14, vcc
	v_add_co_u32_e32 v9, vcc, s2, v9
	v_addc_co_u32_e32 v10, vcc, v17, v10, vcc
	s_waitcnt vmcnt(1)
	global_store_dwordx2 v[15:16], v[1:2], off
	global_store_dwordx2 v[11:12], v[3:4], off
	s_waitcnt vmcnt(2)
	global_store_dwordx2 v[13:14], v[5:6], off
	global_store_dwordx2 v[9:10], v[7:8], off
	s_endpgm
	.section	.rodata,"a",@progbits
	.p2align	6, 0x0
	.amdhsa_kernel _Z16warp_load_kernelILj256ELj4ELj64ELN6hipcub17WarpLoadAlgorithmE2EdEvPT3_S3_
		.amdhsa_group_segment_fixed_size 0
		.amdhsa_private_segment_fixed_size 0
		.amdhsa_kernarg_size 16
		.amdhsa_user_sgpr_count 6
		.amdhsa_user_sgpr_private_segment_buffer 1
		.amdhsa_user_sgpr_dispatch_ptr 0
		.amdhsa_user_sgpr_queue_ptr 0
		.amdhsa_user_sgpr_kernarg_segment_ptr 1
		.amdhsa_user_sgpr_dispatch_id 0
		.amdhsa_user_sgpr_flat_scratch_init 0
		.amdhsa_user_sgpr_private_segment_size 0
		.amdhsa_uses_dynamic_stack 0
		.amdhsa_system_sgpr_private_segment_wavefront_offset 0
		.amdhsa_system_sgpr_workgroup_id_x 1
		.amdhsa_system_sgpr_workgroup_id_y 0
		.amdhsa_system_sgpr_workgroup_id_z 0
		.amdhsa_system_sgpr_workgroup_info 0
		.amdhsa_system_vgpr_workitem_id 0
		.amdhsa_next_free_vgpr 18
		.amdhsa_next_free_sgpr 7
		.amdhsa_reserve_vcc 1
		.amdhsa_reserve_flat_scratch 0
		.amdhsa_float_round_mode_32 0
		.amdhsa_float_round_mode_16_64 0
		.amdhsa_float_denorm_mode_32 3
		.amdhsa_float_denorm_mode_16_64 3
		.amdhsa_dx10_clamp 1
		.amdhsa_ieee_mode 1
		.amdhsa_fp16_overflow 0
		.amdhsa_exception_fp_ieee_invalid_op 0
		.amdhsa_exception_fp_denorm_src 0
		.amdhsa_exception_fp_ieee_div_zero 0
		.amdhsa_exception_fp_ieee_overflow 0
		.amdhsa_exception_fp_ieee_underflow 0
		.amdhsa_exception_fp_ieee_inexact 0
		.amdhsa_exception_int_div_zero 0
	.end_amdhsa_kernel
	.section	.text._Z16warp_load_kernelILj256ELj4ELj64ELN6hipcub17WarpLoadAlgorithmE2EdEvPT3_S3_,"axG",@progbits,_Z16warp_load_kernelILj256ELj4ELj64ELN6hipcub17WarpLoadAlgorithmE2EdEvPT3_S3_,comdat
.Lfunc_end58:
	.size	_Z16warp_load_kernelILj256ELj4ELj64ELN6hipcub17WarpLoadAlgorithmE2EdEvPT3_S3_, .Lfunc_end58-_Z16warp_load_kernelILj256ELj4ELj64ELN6hipcub17WarpLoadAlgorithmE2EdEvPT3_S3_
                                        ; -- End function
	.set _Z16warp_load_kernelILj256ELj4ELj64ELN6hipcub17WarpLoadAlgorithmE2EdEvPT3_S3_.num_vgpr, 18
	.set _Z16warp_load_kernelILj256ELj4ELj64ELN6hipcub17WarpLoadAlgorithmE2EdEvPT3_S3_.num_agpr, 0
	.set _Z16warp_load_kernelILj256ELj4ELj64ELN6hipcub17WarpLoadAlgorithmE2EdEvPT3_S3_.numbered_sgpr, 7
	.set _Z16warp_load_kernelILj256ELj4ELj64ELN6hipcub17WarpLoadAlgorithmE2EdEvPT3_S3_.num_named_barrier, 0
	.set _Z16warp_load_kernelILj256ELj4ELj64ELN6hipcub17WarpLoadAlgorithmE2EdEvPT3_S3_.private_seg_size, 0
	.set _Z16warp_load_kernelILj256ELj4ELj64ELN6hipcub17WarpLoadAlgorithmE2EdEvPT3_S3_.uses_vcc, 1
	.set _Z16warp_load_kernelILj256ELj4ELj64ELN6hipcub17WarpLoadAlgorithmE2EdEvPT3_S3_.uses_flat_scratch, 0
	.set _Z16warp_load_kernelILj256ELj4ELj64ELN6hipcub17WarpLoadAlgorithmE2EdEvPT3_S3_.has_dyn_sized_stack, 0
	.set _Z16warp_load_kernelILj256ELj4ELj64ELN6hipcub17WarpLoadAlgorithmE2EdEvPT3_S3_.has_recursion, 0
	.set _Z16warp_load_kernelILj256ELj4ELj64ELN6hipcub17WarpLoadAlgorithmE2EdEvPT3_S3_.has_indirect_call, 0
	.section	.AMDGPU.csdata,"",@progbits
; Kernel info:
; codeLenInByte = 252
; TotalNumSgprs: 11
; NumVgprs: 18
; ScratchSize: 0
; MemoryBound: 0
; FloatMode: 240
; IeeeMode: 1
; LDSByteSize: 0 bytes/workgroup (compile time only)
; SGPRBlocks: 1
; VGPRBlocks: 4
; NumSGPRsForWavesPerEU: 11
; NumVGPRsForWavesPerEU: 18
; Occupancy: 10
; WaveLimiterHint : 0
; COMPUTE_PGM_RSRC2:SCRATCH_EN: 0
; COMPUTE_PGM_RSRC2:USER_SGPR: 6
; COMPUTE_PGM_RSRC2:TRAP_HANDLER: 0
; COMPUTE_PGM_RSRC2:TGID_X_EN: 1
; COMPUTE_PGM_RSRC2:TGID_Y_EN: 0
; COMPUTE_PGM_RSRC2:TGID_Z_EN: 0
; COMPUTE_PGM_RSRC2:TIDIG_COMP_CNT: 0
	.section	.text._Z16warp_load_kernelILj256ELj4ELj64ELN6hipcub17WarpLoadAlgorithmE3EdEvPT3_S3_,"axG",@progbits,_Z16warp_load_kernelILj256ELj4ELj64ELN6hipcub17WarpLoadAlgorithmE3EdEvPT3_S3_,comdat
	.protected	_Z16warp_load_kernelILj256ELj4ELj64ELN6hipcub17WarpLoadAlgorithmE3EdEvPT3_S3_ ; -- Begin function _Z16warp_load_kernelILj256ELj4ELj64ELN6hipcub17WarpLoadAlgorithmE3EdEvPT3_S3_
	.globl	_Z16warp_load_kernelILj256ELj4ELj64ELN6hipcub17WarpLoadAlgorithmE3EdEvPT3_S3_
	.p2align	8
	.type	_Z16warp_load_kernelILj256ELj4ELj64ELN6hipcub17WarpLoadAlgorithmE3EdEvPT3_S3_,@function
_Z16warp_load_kernelILj256ELj4ELj64ELN6hipcub17WarpLoadAlgorithmE3EdEvPT3_S3_: ; @_Z16warp_load_kernelILj256ELj4ELj64ELN6hipcub17WarpLoadAlgorithmE3EdEvPT3_S3_
; %bb.0:
	s_load_dwordx4 s[0:3], s[4:5], 0x0
	v_lshrrev_b32_e32 v13, 6, v0
	v_mbcnt_lo_u32_b32 v1, -1, 0
	s_lshl_b32 s4, s6, 10
	v_mbcnt_hi_u32_b32 v5, -1, v1
	v_lshl_or_b32 v1, v13, 8, s4
	v_mov_b32_e32 v2, 0
	v_lshlrev_b64 v[3:4], 3, v[1:2]
	s_waitcnt lgkmcnt(0)
	v_mov_b32_e32 v1, s1
	v_add_co_u32_e32 v3, vcc, s0, v3
	v_addc_co_u32_e32 v1, vcc, v1, v4, vcc
	v_lshlrev_b32_e32 v15, 3, v5
	v_add_co_u32_e32 v3, vcc, v3, v15
	v_lshlrev_b32_e32 v16, 5, v5
	v_addc_co_u32_e32 v1, vcc, 0, v1, vcc
	v_and_b32_e32 v4, 0x800, v16
	v_add_co_u32_e32 v3, vcc, v3, v4
	v_addc_co_u32_e32 v4, vcc, 0, v1, vcc
	global_load_dwordx2 v[5:6], v[3:4], off
	global_load_dwordx2 v[7:8], v[3:4], off offset:512
	global_load_dwordx2 v[9:10], v[3:4], off offset:1024
	;; [unrolled: 1-line block ×3, first 2 shown]
	v_lshlrev_b32_e32 v1, 11, v13
	v_or_b32_e32 v21, v1, v15
	v_add_u32_e32 v22, v1, v16
	v_or_b32_e32 v1, s4, v0
	v_lshlrev_b64 v[15:16], 3, v[1:2]
	v_mov_b32_e32 v4, v2
	v_or_b32_e32 v3, 0x100, v1
	v_lshlrev_b64 v[3:4], 3, v[3:4]
	v_mov_b32_e32 v0, s3
	v_add_co_u32_e32 v15, vcc, s2, v15
	v_mov_b32_e32 v14, v2
	v_or_b32_e32 v13, 0x200, v1
	v_or_b32_e32 v1, 0x300, v1
	v_addc_co_u32_e32 v16, vcc, v0, v16, vcc
	v_lshlrev_b64 v[13:14], 3, v[13:14]
	v_lshlrev_b64 v[17:18], 3, v[1:2]
	v_mov_b32_e32 v1, s3
	v_add_co_u32_e32 v19, vcc, s2, v3
	v_addc_co_u32_e32 v20, vcc, v1, v4, vcc
	v_mov_b32_e32 v2, s3
	v_add_co_u32_e32 v13, vcc, s2, v13
	v_addc_co_u32_e32 v14, vcc, v2, v14, vcc
	v_mov_b32_e32 v23, s3
	s_waitcnt vmcnt(2)
	ds_write2st64_b64 v21, v[5:6], v[7:8] offset1:1
	s_waitcnt vmcnt(0)
	ds_write2st64_b64 v21, v[9:10], v[11:12] offset0:2 offset1:3
	; wave barrier
	ds_read_b128 v[0:3], v22
	ds_read_b128 v[4:7], v22 offset:16
	v_add_co_u32_e32 v8, vcc, s2, v17
	v_addc_co_u32_e32 v9, vcc, v23, v18, vcc
	s_waitcnt lgkmcnt(1)
	global_store_dwordx2 v[15:16], v[0:1], off
	global_store_dwordx2 v[19:20], v[2:3], off
	s_waitcnt lgkmcnt(0)
	global_store_dwordx2 v[13:14], v[4:5], off
	global_store_dwordx2 v[8:9], v[6:7], off
	s_endpgm
	.section	.rodata,"a",@progbits
	.p2align	6, 0x0
	.amdhsa_kernel _Z16warp_load_kernelILj256ELj4ELj64ELN6hipcub17WarpLoadAlgorithmE3EdEvPT3_S3_
		.amdhsa_group_segment_fixed_size 8192
		.amdhsa_private_segment_fixed_size 0
		.amdhsa_kernarg_size 16
		.amdhsa_user_sgpr_count 6
		.amdhsa_user_sgpr_private_segment_buffer 1
		.amdhsa_user_sgpr_dispatch_ptr 0
		.amdhsa_user_sgpr_queue_ptr 0
		.amdhsa_user_sgpr_kernarg_segment_ptr 1
		.amdhsa_user_sgpr_dispatch_id 0
		.amdhsa_user_sgpr_flat_scratch_init 0
		.amdhsa_user_sgpr_private_segment_size 0
		.amdhsa_uses_dynamic_stack 0
		.amdhsa_system_sgpr_private_segment_wavefront_offset 0
		.amdhsa_system_sgpr_workgroup_id_x 1
		.amdhsa_system_sgpr_workgroup_id_y 0
		.amdhsa_system_sgpr_workgroup_id_z 0
		.amdhsa_system_sgpr_workgroup_info 0
		.amdhsa_system_vgpr_workitem_id 0
		.amdhsa_next_free_vgpr 29
		.amdhsa_next_free_sgpr 61
		.amdhsa_reserve_vcc 1
		.amdhsa_reserve_flat_scratch 0
		.amdhsa_float_round_mode_32 0
		.amdhsa_float_round_mode_16_64 0
		.amdhsa_float_denorm_mode_32 3
		.amdhsa_float_denorm_mode_16_64 3
		.amdhsa_dx10_clamp 1
		.amdhsa_ieee_mode 1
		.amdhsa_fp16_overflow 0
		.amdhsa_exception_fp_ieee_invalid_op 0
		.amdhsa_exception_fp_denorm_src 0
		.amdhsa_exception_fp_ieee_div_zero 0
		.amdhsa_exception_fp_ieee_overflow 0
		.amdhsa_exception_fp_ieee_underflow 0
		.amdhsa_exception_fp_ieee_inexact 0
		.amdhsa_exception_int_div_zero 0
	.end_amdhsa_kernel
	.section	.text._Z16warp_load_kernelILj256ELj4ELj64ELN6hipcub17WarpLoadAlgorithmE3EdEvPT3_S3_,"axG",@progbits,_Z16warp_load_kernelILj256ELj4ELj64ELN6hipcub17WarpLoadAlgorithmE3EdEvPT3_S3_,comdat
.Lfunc_end59:
	.size	_Z16warp_load_kernelILj256ELj4ELj64ELN6hipcub17WarpLoadAlgorithmE3EdEvPT3_S3_, .Lfunc_end59-_Z16warp_load_kernelILj256ELj4ELj64ELN6hipcub17WarpLoadAlgorithmE3EdEvPT3_S3_
                                        ; -- End function
	.set _Z16warp_load_kernelILj256ELj4ELj64ELN6hipcub17WarpLoadAlgorithmE3EdEvPT3_S3_.num_vgpr, 24
	.set _Z16warp_load_kernelILj256ELj4ELj64ELN6hipcub17WarpLoadAlgorithmE3EdEvPT3_S3_.num_agpr, 0
	.set _Z16warp_load_kernelILj256ELj4ELj64ELN6hipcub17WarpLoadAlgorithmE3EdEvPT3_S3_.numbered_sgpr, 7
	.set _Z16warp_load_kernelILj256ELj4ELj64ELN6hipcub17WarpLoadAlgorithmE3EdEvPT3_S3_.num_named_barrier, 0
	.set _Z16warp_load_kernelILj256ELj4ELj64ELN6hipcub17WarpLoadAlgorithmE3EdEvPT3_S3_.private_seg_size, 0
	.set _Z16warp_load_kernelILj256ELj4ELj64ELN6hipcub17WarpLoadAlgorithmE3EdEvPT3_S3_.uses_vcc, 1
	.set _Z16warp_load_kernelILj256ELj4ELj64ELN6hipcub17WarpLoadAlgorithmE3EdEvPT3_S3_.uses_flat_scratch, 0
	.set _Z16warp_load_kernelILj256ELj4ELj64ELN6hipcub17WarpLoadAlgorithmE3EdEvPT3_S3_.has_dyn_sized_stack, 0
	.set _Z16warp_load_kernelILj256ELj4ELj64ELN6hipcub17WarpLoadAlgorithmE3EdEvPT3_S3_.has_recursion, 0
	.set _Z16warp_load_kernelILj256ELj4ELj64ELN6hipcub17WarpLoadAlgorithmE3EdEvPT3_S3_.has_indirect_call, 0
	.section	.AMDGPU.csdata,"",@progbits
; Kernel info:
; codeLenInByte = 344
; TotalNumSgprs: 11
; NumVgprs: 24
; ScratchSize: 0
; MemoryBound: 0
; FloatMode: 240
; IeeeMode: 1
; LDSByteSize: 8192 bytes/workgroup (compile time only)
; SGPRBlocks: 8
; VGPRBlocks: 7
; NumSGPRsForWavesPerEU: 65
; NumVGPRsForWavesPerEU: 29
; Occupancy: 8
; WaveLimiterHint : 1
; COMPUTE_PGM_RSRC2:SCRATCH_EN: 0
; COMPUTE_PGM_RSRC2:USER_SGPR: 6
; COMPUTE_PGM_RSRC2:TRAP_HANDLER: 0
; COMPUTE_PGM_RSRC2:TGID_X_EN: 1
; COMPUTE_PGM_RSRC2:TGID_Y_EN: 0
; COMPUTE_PGM_RSRC2:TGID_Z_EN: 0
; COMPUTE_PGM_RSRC2:TIDIG_COMP_CNT: 0
	.section	.text._Z16warp_load_kernelILj256ELj8ELj64ELN6hipcub17WarpLoadAlgorithmE0EdEvPT3_S3_,"axG",@progbits,_Z16warp_load_kernelILj256ELj8ELj64ELN6hipcub17WarpLoadAlgorithmE0EdEvPT3_S3_,comdat
	.protected	_Z16warp_load_kernelILj256ELj8ELj64ELN6hipcub17WarpLoadAlgorithmE0EdEvPT3_S3_ ; -- Begin function _Z16warp_load_kernelILj256ELj8ELj64ELN6hipcub17WarpLoadAlgorithmE0EdEvPT3_S3_
	.globl	_Z16warp_load_kernelILj256ELj8ELj64ELN6hipcub17WarpLoadAlgorithmE0EdEvPT3_S3_
	.p2align	8
	.type	_Z16warp_load_kernelILj256ELj8ELj64ELN6hipcub17WarpLoadAlgorithmE0EdEvPT3_S3_,@function
_Z16warp_load_kernelILj256ELj8ELj64ELN6hipcub17WarpLoadAlgorithmE0EdEvPT3_S3_: ; @_Z16warp_load_kernelILj256ELj8ELj64ELN6hipcub17WarpLoadAlgorithmE0EdEvPT3_S3_
; %bb.0:
	v_mbcnt_lo_u32_b32 v1, -1, 0
	s_load_dwordx4 s[0:3], s[4:5], 0x0
	v_mbcnt_hi_u32_b32 v3, -1, v1
	v_lshlrev_b32_e32 v1, 3, v0
	s_lshl_b32 s4, s6, 11
	v_and_b32_e32 v1, 0x600, v1
	v_or_b32_e32 v17, s4, v1
	v_mov_b32_e32 v18, 0
	v_lshlrev_b64 v[1:2], 3, v[17:18]
	s_waitcnt lgkmcnt(0)
	v_mov_b32_e32 v4, s1
	v_add_co_u32_e32 v1, vcc, s0, v1
	v_addc_co_u32_e32 v2, vcc, v4, v2, vcc
	v_lshlrev_b32_e32 v3, 6, v3
	v_add_co_u32_e32 v19, vcc, v1, v3
	v_addc_co_u32_e32 v20, vcc, 0, v2, vcc
	global_load_dwordx4 v[1:4], v[19:20], off
	global_load_dwordx4 v[5:8], v[19:20], off offset:16
	v_or_b32_e32 v17, s4, v0
	v_lshlrev_b64 v[9:10], 3, v[17:18]
	v_mov_b32_e32 v0, s3
	v_add_co_u32_e32 v21, vcc, s2, v9
	v_addc_co_u32_e32 v22, vcc, v0, v10, vcc
	global_load_dwordx4 v[9:12], v[19:20], off offset:32
	global_load_dwordx4 v[13:16], v[19:20], off offset:48
	v_or_b32_e32 v0, 0x200, v17
	v_mov_b32_e32 v19, s3
	s_waitcnt vmcnt(3)
	global_store_dwordx2 v[21:22], v[1:2], off
	global_store_dwordx2 v[21:22], v[3:4], off offset:2048
	v_mov_b32_e32 v1, v18
	v_lshlrev_b64 v[0:1], 3, v[0:1]
	v_mov_b32_e32 v2, s3
	v_add_co_u32_e32 v0, vcc, s2, v0
	v_addc_co_u32_e32 v1, vcc, v2, v1, vcc
	v_mov_b32_e32 v3, v18
	v_or_b32_e32 v2, 0x300, v17
	v_lshlrev_b64 v[2:3], 3, v[2:3]
	v_mov_b32_e32 v4, s3
	v_add_co_u32_e32 v2, vcc, s2, v2
	v_addc_co_u32_e32 v3, vcc, v4, v3, vcc
	v_mov_b32_e32 v4, v18
	s_waitcnt vmcnt(4)
	global_store_dwordx2 v[2:3], v[7:8], off
	v_or_b32_e32 v3, 0x400, v17
	v_lshlrev_b64 v[2:3], 3, v[3:4]
	global_store_dwordx2 v[0:1], v[5:6], off
	v_mov_b32_e32 v1, v18
	v_or_b32_e32 v0, 0x500, v17
	v_mov_b32_e32 v7, s3
	v_lshlrev_b64 v[0:1], 3, v[0:1]
	v_add_co_u32_e32 v2, vcc, s2, v2
	v_mov_b32_e32 v6, v18
	v_or_b32_e32 v5, 0x600, v17
	v_addc_co_u32_e32 v3, vcc, v7, v3, vcc
	v_mov_b32_e32 v8, s3
	v_lshlrev_b64 v[4:5], 3, v[5:6]
	v_add_co_u32_e32 v0, vcc, s2, v0
	v_or_b32_e32 v17, 0x700, v17
	v_addc_co_u32_e32 v1, vcc, v8, v1, vcc
	v_lshlrev_b64 v[6:7], 3, v[17:18]
	v_add_co_u32_e32 v4, vcc, s2, v4
	v_addc_co_u32_e32 v5, vcc, v19, v5, vcc
	v_add_co_u32_e32 v6, vcc, s2, v6
	v_addc_co_u32_e32 v7, vcc, v8, v7, vcc
	s_waitcnt vmcnt(5)
	global_store_dwordx2 v[2:3], v[9:10], off
	global_store_dwordx2 v[0:1], v[11:12], off
	s_waitcnt vmcnt(6)
	global_store_dwordx2 v[4:5], v[13:14], off
	global_store_dwordx2 v[6:7], v[15:16], off
	s_endpgm
	.section	.rodata,"a",@progbits
	.p2align	6, 0x0
	.amdhsa_kernel _Z16warp_load_kernelILj256ELj8ELj64ELN6hipcub17WarpLoadAlgorithmE0EdEvPT3_S3_
		.amdhsa_group_segment_fixed_size 0
		.amdhsa_private_segment_fixed_size 0
		.amdhsa_kernarg_size 16
		.amdhsa_user_sgpr_count 6
		.amdhsa_user_sgpr_private_segment_buffer 1
		.amdhsa_user_sgpr_dispatch_ptr 0
		.amdhsa_user_sgpr_queue_ptr 0
		.amdhsa_user_sgpr_kernarg_segment_ptr 1
		.amdhsa_user_sgpr_dispatch_id 0
		.amdhsa_user_sgpr_flat_scratch_init 0
		.amdhsa_user_sgpr_private_segment_size 0
		.amdhsa_uses_dynamic_stack 0
		.amdhsa_system_sgpr_private_segment_wavefront_offset 0
		.amdhsa_system_sgpr_workgroup_id_x 1
		.amdhsa_system_sgpr_workgroup_id_y 0
		.amdhsa_system_sgpr_workgroup_id_z 0
		.amdhsa_system_sgpr_workgroup_info 0
		.amdhsa_system_vgpr_workitem_id 0
		.amdhsa_next_free_vgpr 23
		.amdhsa_next_free_sgpr 7
		.amdhsa_reserve_vcc 1
		.amdhsa_reserve_flat_scratch 0
		.amdhsa_float_round_mode_32 0
		.amdhsa_float_round_mode_16_64 0
		.amdhsa_float_denorm_mode_32 3
		.amdhsa_float_denorm_mode_16_64 3
		.amdhsa_dx10_clamp 1
		.amdhsa_ieee_mode 1
		.amdhsa_fp16_overflow 0
		.amdhsa_exception_fp_ieee_invalid_op 0
		.amdhsa_exception_fp_denorm_src 0
		.amdhsa_exception_fp_ieee_div_zero 0
		.amdhsa_exception_fp_ieee_overflow 0
		.amdhsa_exception_fp_ieee_underflow 0
		.amdhsa_exception_fp_ieee_inexact 0
		.amdhsa_exception_int_div_zero 0
	.end_amdhsa_kernel
	.section	.text._Z16warp_load_kernelILj256ELj8ELj64ELN6hipcub17WarpLoadAlgorithmE0EdEvPT3_S3_,"axG",@progbits,_Z16warp_load_kernelILj256ELj8ELj64ELN6hipcub17WarpLoadAlgorithmE0EdEvPT3_S3_,comdat
.Lfunc_end60:
	.size	_Z16warp_load_kernelILj256ELj8ELj64ELN6hipcub17WarpLoadAlgorithmE0EdEvPT3_S3_, .Lfunc_end60-_Z16warp_load_kernelILj256ELj8ELj64ELN6hipcub17WarpLoadAlgorithmE0EdEvPT3_S3_
                                        ; -- End function
	.set _Z16warp_load_kernelILj256ELj8ELj64ELN6hipcub17WarpLoadAlgorithmE0EdEvPT3_S3_.num_vgpr, 23
	.set _Z16warp_load_kernelILj256ELj8ELj64ELN6hipcub17WarpLoadAlgorithmE0EdEvPT3_S3_.num_agpr, 0
	.set _Z16warp_load_kernelILj256ELj8ELj64ELN6hipcub17WarpLoadAlgorithmE0EdEvPT3_S3_.numbered_sgpr, 7
	.set _Z16warp_load_kernelILj256ELj8ELj64ELN6hipcub17WarpLoadAlgorithmE0EdEvPT3_S3_.num_named_barrier, 0
	.set _Z16warp_load_kernelILj256ELj8ELj64ELN6hipcub17WarpLoadAlgorithmE0EdEvPT3_S3_.private_seg_size, 0
	.set _Z16warp_load_kernelILj256ELj8ELj64ELN6hipcub17WarpLoadAlgorithmE0EdEvPT3_S3_.uses_vcc, 1
	.set _Z16warp_load_kernelILj256ELj8ELj64ELN6hipcub17WarpLoadAlgorithmE0EdEvPT3_S3_.uses_flat_scratch, 0
	.set _Z16warp_load_kernelILj256ELj8ELj64ELN6hipcub17WarpLoadAlgorithmE0EdEvPT3_S3_.has_dyn_sized_stack, 0
	.set _Z16warp_load_kernelILj256ELj8ELj64ELN6hipcub17WarpLoadAlgorithmE0EdEvPT3_S3_.has_recursion, 0
	.set _Z16warp_load_kernelILj256ELj8ELj64ELN6hipcub17WarpLoadAlgorithmE0EdEvPT3_S3_.has_indirect_call, 0
	.section	.AMDGPU.csdata,"",@progbits
; Kernel info:
; codeLenInByte = 408
; TotalNumSgprs: 11
; NumVgprs: 23
; ScratchSize: 0
; MemoryBound: 0
; FloatMode: 240
; IeeeMode: 1
; LDSByteSize: 0 bytes/workgroup (compile time only)
; SGPRBlocks: 1
; VGPRBlocks: 5
; NumSGPRsForWavesPerEU: 11
; NumVGPRsForWavesPerEU: 23
; Occupancy: 10
; WaveLimiterHint : 1
; COMPUTE_PGM_RSRC2:SCRATCH_EN: 0
; COMPUTE_PGM_RSRC2:USER_SGPR: 6
; COMPUTE_PGM_RSRC2:TRAP_HANDLER: 0
; COMPUTE_PGM_RSRC2:TGID_X_EN: 1
; COMPUTE_PGM_RSRC2:TGID_Y_EN: 0
; COMPUTE_PGM_RSRC2:TGID_Z_EN: 0
; COMPUTE_PGM_RSRC2:TIDIG_COMP_CNT: 0
	.section	.text._Z16warp_load_kernelILj256ELj8ELj64ELN6hipcub17WarpLoadAlgorithmE1EdEvPT3_S3_,"axG",@progbits,_Z16warp_load_kernelILj256ELj8ELj64ELN6hipcub17WarpLoadAlgorithmE1EdEvPT3_S3_,comdat
	.protected	_Z16warp_load_kernelILj256ELj8ELj64ELN6hipcub17WarpLoadAlgorithmE1EdEvPT3_S3_ ; -- Begin function _Z16warp_load_kernelILj256ELj8ELj64ELN6hipcub17WarpLoadAlgorithmE1EdEvPT3_S3_
	.globl	_Z16warp_load_kernelILj256ELj8ELj64ELN6hipcub17WarpLoadAlgorithmE1EdEvPT3_S3_
	.p2align	8
	.type	_Z16warp_load_kernelILj256ELj8ELj64ELN6hipcub17WarpLoadAlgorithmE1EdEvPT3_S3_,@function
_Z16warp_load_kernelILj256ELj8ELj64ELN6hipcub17WarpLoadAlgorithmE1EdEvPT3_S3_: ; @_Z16warp_load_kernelILj256ELj8ELj64ELN6hipcub17WarpLoadAlgorithmE1EdEvPT3_S3_
; %bb.0:
	v_mbcnt_lo_u32_b32 v1, -1, 0
	s_load_dwordx4 s[0:3], s[4:5], 0x0
	v_mbcnt_hi_u32_b32 v5, -1, v1
	v_lshlrev_b32_e32 v1, 3, v0
	s_lshl_b32 s4, s6, 11
	v_and_b32_e32 v1, 0x600, v1
	v_or_b32_e32 v1, s4, v1
	v_mov_b32_e32 v2, 0
	v_lshlrev_b64 v[3:4], 3, v[1:2]
	s_waitcnt lgkmcnt(0)
	v_mov_b32_e32 v1, s1
	v_add_co_u32_e32 v3, vcc, s0, v3
	v_addc_co_u32_e32 v1, vcc, v1, v4, vcc
	v_lshlrev_b32_e32 v4, 3, v5
	v_add_co_u32_e32 v3, vcc, v3, v4
	v_lshlrev_b32_e32 v4, 6, v5
	v_addc_co_u32_e32 v1, vcc, 0, v1, vcc
	v_and_b32_e32 v4, 0x1000, v4
	v_add_co_u32_e32 v3, vcc, v3, v4
	v_addc_co_u32_e32 v4, vcc, 0, v1, vcc
	global_load_dwordx2 v[5:6], v[3:4], off
	global_load_dwordx2 v[7:8], v[3:4], off offset:512
	global_load_dwordx2 v[9:10], v[3:4], off offset:1024
	v_or_b32_e32 v1, s4, v0
	v_lshlrev_b64 v[13:14], 3, v[1:2]
	v_mov_b32_e32 v12, v2
	v_or_b32_e32 v11, 0x200, v1
	v_mov_b32_e32 v0, s3
	v_lshlrev_b64 v[11:12], 3, v[11:12]
	v_add_co_u32_e32 v13, vcc, s2, v13
	v_addc_co_u32_e32 v14, vcc, v0, v14, vcc
	v_mov_b32_e32 v15, s3
	v_add_co_u32_e32 v11, vcc, s2, v11
	v_addc_co_u32_e32 v12, vcc, v15, v12, vcc
	global_load_dwordx2 v[15:16], v[3:4], off offset:1536
	global_load_dwordx2 v[17:18], v[3:4], off offset:2048
	;; [unrolled: 1-line block ×5, first 2 shown]
	v_mov_b32_e32 v4, v2
	v_or_b32_e32 v3, 0x300, v1
	v_lshlrev_b64 v[3:4], 3, v[3:4]
	s_waitcnt vmcnt(7)
	global_store_dwordx2 v[13:14], v[5:6], off
	s_waitcnt vmcnt(7)
	global_store_dwordx2 v[13:14], v[7:8], off offset:2048
	v_mov_b32_e32 v6, v2
	v_or_b32_e32 v5, 0x400, v1
	v_add_co_u32_e32 v3, vcc, s2, v3
	v_lshlrev_b64 v[5:6], 3, v[5:6]
	v_addc_co_u32_e32 v4, vcc, v0, v4, vcc
	v_mov_b32_e32 v8, v2
	v_or_b32_e32 v7, 0x500, v1
	v_add_co_u32_e32 v5, vcc, s2, v5
	v_lshlrev_b64 v[7:8], 3, v[7:8]
	v_addc_co_u32_e32 v6, vcc, v0, v6, vcc
	s_waitcnt vmcnt(7)
	global_store_dwordx2 v[11:12], v[9:10], off
	v_mov_b32_e32 v10, v2
	v_or_b32_e32 v9, 0x600, v1
	v_add_co_u32_e32 v7, vcc, s2, v7
	v_lshlrev_b64 v[9:10], 3, v[9:10]
	v_addc_co_u32_e32 v8, vcc, v0, v8, vcc
	v_add_co_u32_e32 v9, vcc, s2, v9
	v_or_b32_e32 v1, 0x700, v1
	v_addc_co_u32_e32 v10, vcc, v0, v10, vcc
	v_lshlrev_b64 v[0:1], 3, v[1:2]
	v_mov_b32_e32 v2, s3
	v_add_co_u32_e32 v0, vcc, s2, v0
	v_addc_co_u32_e32 v1, vcc, v2, v1, vcc
	s_waitcnt vmcnt(7)
	global_store_dwordx2 v[3:4], v[15:16], off
	s_waitcnt vmcnt(7)
	global_store_dwordx2 v[5:6], v[17:18], off
	;; [unrolled: 2-line block ×5, first 2 shown]
	s_endpgm
	.section	.rodata,"a",@progbits
	.p2align	6, 0x0
	.amdhsa_kernel _Z16warp_load_kernelILj256ELj8ELj64ELN6hipcub17WarpLoadAlgorithmE1EdEvPT3_S3_
		.amdhsa_group_segment_fixed_size 0
		.amdhsa_private_segment_fixed_size 0
		.amdhsa_kernarg_size 16
		.amdhsa_user_sgpr_count 6
		.amdhsa_user_sgpr_private_segment_buffer 1
		.amdhsa_user_sgpr_dispatch_ptr 0
		.amdhsa_user_sgpr_queue_ptr 0
		.amdhsa_user_sgpr_kernarg_segment_ptr 1
		.amdhsa_user_sgpr_dispatch_id 0
		.amdhsa_user_sgpr_flat_scratch_init 0
		.amdhsa_user_sgpr_private_segment_size 0
		.amdhsa_uses_dynamic_stack 0
		.amdhsa_system_sgpr_private_segment_wavefront_offset 0
		.amdhsa_system_sgpr_workgroup_id_x 1
		.amdhsa_system_sgpr_workgroup_id_y 0
		.amdhsa_system_sgpr_workgroup_id_z 0
		.amdhsa_system_sgpr_workgroup_info 0
		.amdhsa_system_vgpr_workitem_id 0
		.amdhsa_next_free_vgpr 25
		.amdhsa_next_free_sgpr 7
		.amdhsa_reserve_vcc 1
		.amdhsa_reserve_flat_scratch 0
		.amdhsa_float_round_mode_32 0
		.amdhsa_float_round_mode_16_64 0
		.amdhsa_float_denorm_mode_32 3
		.amdhsa_float_denorm_mode_16_64 3
		.amdhsa_dx10_clamp 1
		.amdhsa_ieee_mode 1
		.amdhsa_fp16_overflow 0
		.amdhsa_exception_fp_ieee_invalid_op 0
		.amdhsa_exception_fp_denorm_src 0
		.amdhsa_exception_fp_ieee_div_zero 0
		.amdhsa_exception_fp_ieee_overflow 0
		.amdhsa_exception_fp_ieee_underflow 0
		.amdhsa_exception_fp_ieee_inexact 0
		.amdhsa_exception_int_div_zero 0
	.end_amdhsa_kernel
	.section	.text._Z16warp_load_kernelILj256ELj8ELj64ELN6hipcub17WarpLoadAlgorithmE1EdEvPT3_S3_,"axG",@progbits,_Z16warp_load_kernelILj256ELj8ELj64ELN6hipcub17WarpLoadAlgorithmE1EdEvPT3_S3_,comdat
.Lfunc_end61:
	.size	_Z16warp_load_kernelILj256ELj8ELj64ELN6hipcub17WarpLoadAlgorithmE1EdEvPT3_S3_, .Lfunc_end61-_Z16warp_load_kernelILj256ELj8ELj64ELN6hipcub17WarpLoadAlgorithmE1EdEvPT3_S3_
                                        ; -- End function
	.set _Z16warp_load_kernelILj256ELj8ELj64ELN6hipcub17WarpLoadAlgorithmE1EdEvPT3_S3_.num_vgpr, 25
	.set _Z16warp_load_kernelILj256ELj8ELj64ELN6hipcub17WarpLoadAlgorithmE1EdEvPT3_S3_.num_agpr, 0
	.set _Z16warp_load_kernelILj256ELj8ELj64ELN6hipcub17WarpLoadAlgorithmE1EdEvPT3_S3_.numbered_sgpr, 7
	.set _Z16warp_load_kernelILj256ELj8ELj64ELN6hipcub17WarpLoadAlgorithmE1EdEvPT3_S3_.num_named_barrier, 0
	.set _Z16warp_load_kernelILj256ELj8ELj64ELN6hipcub17WarpLoadAlgorithmE1EdEvPT3_S3_.private_seg_size, 0
	.set _Z16warp_load_kernelILj256ELj8ELj64ELN6hipcub17WarpLoadAlgorithmE1EdEvPT3_S3_.uses_vcc, 1
	.set _Z16warp_load_kernelILj256ELj8ELj64ELN6hipcub17WarpLoadAlgorithmE1EdEvPT3_S3_.uses_flat_scratch, 0
	.set _Z16warp_load_kernelILj256ELj8ELj64ELN6hipcub17WarpLoadAlgorithmE1EdEvPT3_S3_.has_dyn_sized_stack, 0
	.set _Z16warp_load_kernelILj256ELj8ELj64ELN6hipcub17WarpLoadAlgorithmE1EdEvPT3_S3_.has_recursion, 0
	.set _Z16warp_load_kernelILj256ELj8ELj64ELN6hipcub17WarpLoadAlgorithmE1EdEvPT3_S3_.has_indirect_call, 0
	.section	.AMDGPU.csdata,"",@progbits
; Kernel info:
; codeLenInByte = 464
; TotalNumSgprs: 11
; NumVgprs: 25
; ScratchSize: 0
; MemoryBound: 1
; FloatMode: 240
; IeeeMode: 1
; LDSByteSize: 0 bytes/workgroup (compile time only)
; SGPRBlocks: 1
; VGPRBlocks: 6
; NumSGPRsForWavesPerEU: 11
; NumVGPRsForWavesPerEU: 25
; Occupancy: 9
; WaveLimiterHint : 1
; COMPUTE_PGM_RSRC2:SCRATCH_EN: 0
; COMPUTE_PGM_RSRC2:USER_SGPR: 6
; COMPUTE_PGM_RSRC2:TRAP_HANDLER: 0
; COMPUTE_PGM_RSRC2:TGID_X_EN: 1
; COMPUTE_PGM_RSRC2:TGID_Y_EN: 0
; COMPUTE_PGM_RSRC2:TGID_Z_EN: 0
; COMPUTE_PGM_RSRC2:TIDIG_COMP_CNT: 0
	.section	.text._Z16warp_load_kernelILj256ELj8ELj64ELN6hipcub17WarpLoadAlgorithmE2EdEvPT3_S3_,"axG",@progbits,_Z16warp_load_kernelILj256ELj8ELj64ELN6hipcub17WarpLoadAlgorithmE2EdEvPT3_S3_,comdat
	.protected	_Z16warp_load_kernelILj256ELj8ELj64ELN6hipcub17WarpLoadAlgorithmE2EdEvPT3_S3_ ; -- Begin function _Z16warp_load_kernelILj256ELj8ELj64ELN6hipcub17WarpLoadAlgorithmE2EdEvPT3_S3_
	.globl	_Z16warp_load_kernelILj256ELj8ELj64ELN6hipcub17WarpLoadAlgorithmE2EdEvPT3_S3_
	.p2align	8
	.type	_Z16warp_load_kernelILj256ELj8ELj64ELN6hipcub17WarpLoadAlgorithmE2EdEvPT3_S3_,@function
_Z16warp_load_kernelILj256ELj8ELj64ELN6hipcub17WarpLoadAlgorithmE2EdEvPT3_S3_: ; @_Z16warp_load_kernelILj256ELj8ELj64ELN6hipcub17WarpLoadAlgorithmE2EdEvPT3_S3_
; %bb.0:
	v_mbcnt_lo_u32_b32 v1, -1, 0
	s_load_dwordx4 s[0:3], s[4:5], 0x0
	v_mbcnt_hi_u32_b32 v3, -1, v1
	v_lshlrev_b32_e32 v1, 3, v0
	s_lshl_b32 s4, s6, 11
	v_and_b32_e32 v1, 0x600, v1
	v_or_b32_e32 v17, s4, v1
	v_mov_b32_e32 v18, 0
	v_lshlrev_b64 v[1:2], 3, v[17:18]
	s_waitcnt lgkmcnt(0)
	v_mov_b32_e32 v4, s1
	v_add_co_u32_e32 v1, vcc, s0, v1
	v_addc_co_u32_e32 v2, vcc, v4, v2, vcc
	v_lshlrev_b32_e32 v3, 6, v3
	v_add_co_u32_e32 v19, vcc, v1, v3
	v_addc_co_u32_e32 v20, vcc, 0, v2, vcc
	global_load_dwordx4 v[1:4], v[19:20], off
	global_load_dwordx4 v[5:8], v[19:20], off offset:16
	v_or_b32_e32 v17, s4, v0
	v_lshlrev_b64 v[9:10], 3, v[17:18]
	v_mov_b32_e32 v0, s3
	v_add_co_u32_e32 v21, vcc, s2, v9
	v_addc_co_u32_e32 v22, vcc, v0, v10, vcc
	global_load_dwordx4 v[9:12], v[19:20], off offset:32
	global_load_dwordx4 v[13:16], v[19:20], off offset:48
	v_or_b32_e32 v0, 0x200, v17
	v_mov_b32_e32 v19, s3
	s_waitcnt vmcnt(3)
	global_store_dwordx2 v[21:22], v[1:2], off
	global_store_dwordx2 v[21:22], v[3:4], off offset:2048
	v_mov_b32_e32 v1, v18
	v_lshlrev_b64 v[0:1], 3, v[0:1]
	v_mov_b32_e32 v2, s3
	v_add_co_u32_e32 v0, vcc, s2, v0
	v_addc_co_u32_e32 v1, vcc, v2, v1, vcc
	v_mov_b32_e32 v3, v18
	v_or_b32_e32 v2, 0x300, v17
	v_lshlrev_b64 v[2:3], 3, v[2:3]
	v_mov_b32_e32 v4, s3
	v_add_co_u32_e32 v2, vcc, s2, v2
	v_addc_co_u32_e32 v3, vcc, v4, v3, vcc
	v_mov_b32_e32 v4, v18
	s_waitcnt vmcnt(4)
	global_store_dwordx2 v[2:3], v[7:8], off
	v_or_b32_e32 v3, 0x400, v17
	v_lshlrev_b64 v[2:3], 3, v[3:4]
	global_store_dwordx2 v[0:1], v[5:6], off
	v_mov_b32_e32 v1, v18
	v_or_b32_e32 v0, 0x500, v17
	v_mov_b32_e32 v7, s3
	v_lshlrev_b64 v[0:1], 3, v[0:1]
	v_add_co_u32_e32 v2, vcc, s2, v2
	v_mov_b32_e32 v6, v18
	v_or_b32_e32 v5, 0x600, v17
	v_addc_co_u32_e32 v3, vcc, v7, v3, vcc
	v_mov_b32_e32 v8, s3
	v_lshlrev_b64 v[4:5], 3, v[5:6]
	v_add_co_u32_e32 v0, vcc, s2, v0
	v_or_b32_e32 v17, 0x700, v17
	v_addc_co_u32_e32 v1, vcc, v8, v1, vcc
	v_lshlrev_b64 v[6:7], 3, v[17:18]
	v_add_co_u32_e32 v4, vcc, s2, v4
	v_addc_co_u32_e32 v5, vcc, v19, v5, vcc
	v_add_co_u32_e32 v6, vcc, s2, v6
	v_addc_co_u32_e32 v7, vcc, v8, v7, vcc
	s_waitcnt vmcnt(5)
	global_store_dwordx2 v[2:3], v[9:10], off
	global_store_dwordx2 v[0:1], v[11:12], off
	s_waitcnt vmcnt(6)
	global_store_dwordx2 v[4:5], v[13:14], off
	global_store_dwordx2 v[6:7], v[15:16], off
	s_endpgm
	.section	.rodata,"a",@progbits
	.p2align	6, 0x0
	.amdhsa_kernel _Z16warp_load_kernelILj256ELj8ELj64ELN6hipcub17WarpLoadAlgorithmE2EdEvPT3_S3_
		.amdhsa_group_segment_fixed_size 0
		.amdhsa_private_segment_fixed_size 0
		.amdhsa_kernarg_size 16
		.amdhsa_user_sgpr_count 6
		.amdhsa_user_sgpr_private_segment_buffer 1
		.amdhsa_user_sgpr_dispatch_ptr 0
		.amdhsa_user_sgpr_queue_ptr 0
		.amdhsa_user_sgpr_kernarg_segment_ptr 1
		.amdhsa_user_sgpr_dispatch_id 0
		.amdhsa_user_sgpr_flat_scratch_init 0
		.amdhsa_user_sgpr_private_segment_size 0
		.amdhsa_uses_dynamic_stack 0
		.amdhsa_system_sgpr_private_segment_wavefront_offset 0
		.amdhsa_system_sgpr_workgroup_id_x 1
		.amdhsa_system_sgpr_workgroup_id_y 0
		.amdhsa_system_sgpr_workgroup_id_z 0
		.amdhsa_system_sgpr_workgroup_info 0
		.amdhsa_system_vgpr_workitem_id 0
		.amdhsa_next_free_vgpr 23
		.amdhsa_next_free_sgpr 7
		.amdhsa_reserve_vcc 1
		.amdhsa_reserve_flat_scratch 0
		.amdhsa_float_round_mode_32 0
		.amdhsa_float_round_mode_16_64 0
		.amdhsa_float_denorm_mode_32 3
		.amdhsa_float_denorm_mode_16_64 3
		.amdhsa_dx10_clamp 1
		.amdhsa_ieee_mode 1
		.amdhsa_fp16_overflow 0
		.amdhsa_exception_fp_ieee_invalid_op 0
		.amdhsa_exception_fp_denorm_src 0
		.amdhsa_exception_fp_ieee_div_zero 0
		.amdhsa_exception_fp_ieee_overflow 0
		.amdhsa_exception_fp_ieee_underflow 0
		.amdhsa_exception_fp_ieee_inexact 0
		.amdhsa_exception_int_div_zero 0
	.end_amdhsa_kernel
	.section	.text._Z16warp_load_kernelILj256ELj8ELj64ELN6hipcub17WarpLoadAlgorithmE2EdEvPT3_S3_,"axG",@progbits,_Z16warp_load_kernelILj256ELj8ELj64ELN6hipcub17WarpLoadAlgorithmE2EdEvPT3_S3_,comdat
.Lfunc_end62:
	.size	_Z16warp_load_kernelILj256ELj8ELj64ELN6hipcub17WarpLoadAlgorithmE2EdEvPT3_S3_, .Lfunc_end62-_Z16warp_load_kernelILj256ELj8ELj64ELN6hipcub17WarpLoadAlgorithmE2EdEvPT3_S3_
                                        ; -- End function
	.set _Z16warp_load_kernelILj256ELj8ELj64ELN6hipcub17WarpLoadAlgorithmE2EdEvPT3_S3_.num_vgpr, 23
	.set _Z16warp_load_kernelILj256ELj8ELj64ELN6hipcub17WarpLoadAlgorithmE2EdEvPT3_S3_.num_agpr, 0
	.set _Z16warp_load_kernelILj256ELj8ELj64ELN6hipcub17WarpLoadAlgorithmE2EdEvPT3_S3_.numbered_sgpr, 7
	.set _Z16warp_load_kernelILj256ELj8ELj64ELN6hipcub17WarpLoadAlgorithmE2EdEvPT3_S3_.num_named_barrier, 0
	.set _Z16warp_load_kernelILj256ELj8ELj64ELN6hipcub17WarpLoadAlgorithmE2EdEvPT3_S3_.private_seg_size, 0
	.set _Z16warp_load_kernelILj256ELj8ELj64ELN6hipcub17WarpLoadAlgorithmE2EdEvPT3_S3_.uses_vcc, 1
	.set _Z16warp_load_kernelILj256ELj8ELj64ELN6hipcub17WarpLoadAlgorithmE2EdEvPT3_S3_.uses_flat_scratch, 0
	.set _Z16warp_load_kernelILj256ELj8ELj64ELN6hipcub17WarpLoadAlgorithmE2EdEvPT3_S3_.has_dyn_sized_stack, 0
	.set _Z16warp_load_kernelILj256ELj8ELj64ELN6hipcub17WarpLoadAlgorithmE2EdEvPT3_S3_.has_recursion, 0
	.set _Z16warp_load_kernelILj256ELj8ELj64ELN6hipcub17WarpLoadAlgorithmE2EdEvPT3_S3_.has_indirect_call, 0
	.section	.AMDGPU.csdata,"",@progbits
; Kernel info:
; codeLenInByte = 408
; TotalNumSgprs: 11
; NumVgprs: 23
; ScratchSize: 0
; MemoryBound: 0
; FloatMode: 240
; IeeeMode: 1
; LDSByteSize: 0 bytes/workgroup (compile time only)
; SGPRBlocks: 1
; VGPRBlocks: 5
; NumSGPRsForWavesPerEU: 11
; NumVGPRsForWavesPerEU: 23
; Occupancy: 10
; WaveLimiterHint : 1
; COMPUTE_PGM_RSRC2:SCRATCH_EN: 0
; COMPUTE_PGM_RSRC2:USER_SGPR: 6
; COMPUTE_PGM_RSRC2:TRAP_HANDLER: 0
; COMPUTE_PGM_RSRC2:TGID_X_EN: 1
; COMPUTE_PGM_RSRC2:TGID_Y_EN: 0
; COMPUTE_PGM_RSRC2:TGID_Z_EN: 0
; COMPUTE_PGM_RSRC2:TIDIG_COMP_CNT: 0
	.section	.text._Z16warp_load_kernelILj256ELj8ELj64ELN6hipcub17WarpLoadAlgorithmE3EdEvPT3_S3_,"axG",@progbits,_Z16warp_load_kernelILj256ELj8ELj64ELN6hipcub17WarpLoadAlgorithmE3EdEvPT3_S3_,comdat
	.protected	_Z16warp_load_kernelILj256ELj8ELj64ELN6hipcub17WarpLoadAlgorithmE3EdEvPT3_S3_ ; -- Begin function _Z16warp_load_kernelILj256ELj8ELj64ELN6hipcub17WarpLoadAlgorithmE3EdEvPT3_S3_
	.globl	_Z16warp_load_kernelILj256ELj8ELj64ELN6hipcub17WarpLoadAlgorithmE3EdEvPT3_S3_
	.p2align	8
	.type	_Z16warp_load_kernelILj256ELj8ELj64ELN6hipcub17WarpLoadAlgorithmE3EdEvPT3_S3_,@function
_Z16warp_load_kernelILj256ELj8ELj64ELN6hipcub17WarpLoadAlgorithmE3EdEvPT3_S3_: ; @_Z16warp_load_kernelILj256ELj8ELj64ELN6hipcub17WarpLoadAlgorithmE3EdEvPT3_S3_
; %bb.0:
	s_load_dwordx4 s[0:3], s[4:5], 0x0
	v_lshrrev_b32_e32 v15, 6, v0
	s_lshl_b32 s4, s6, 11
	v_mbcnt_lo_u32_b32 v1, -1, 0
	v_lshl_or_b32 v16, v15, 9, s4
	v_mov_b32_e32 v17, 0
	v_mbcnt_hi_u32_b32 v3, -1, v1
	v_lshlrev_b64 v[1:2], 3, v[16:17]
	s_waitcnt lgkmcnt(0)
	v_mov_b32_e32 v4, s1
	v_add_co_u32_e32 v1, vcc, s0, v1
	v_addc_co_u32_e32 v2, vcc, v4, v2, vcc
	v_lshlrev_b32_e32 v16, 3, v3
	v_add_co_u32_e32 v1, vcc, v1, v16
	v_lshlrev_b32_e32 v22, 6, v3
	v_addc_co_u32_e32 v2, vcc, 0, v2, vcc
	v_and_b32_e32 v3, 0x1000, v22
	v_add_co_u32_e32 v1, vcc, v1, v3
	v_addc_co_u32_e32 v2, vcc, 0, v2, vcc
	global_load_dwordx2 v[3:4], v[1:2], off
	global_load_dwordx2 v[5:6], v[1:2], off offset:512
	global_load_dwordx2 v[7:8], v[1:2], off offset:1024
	;; [unrolled: 1-line block ×7, first 2 shown]
	v_lshlrev_b32_e32 v2, 12, v15
	v_or_b32_e32 v15, v2, v16
	v_or_b32_e32 v16, s4, v0
	v_lshlrev_b64 v[30:31], 3, v[16:17]
	v_mov_b32_e32 v1, v17
	v_or_b32_e32 v0, 0x200, v16
	v_add_u32_e32 v34, v2, v22
	v_lshlrev_b64 v[0:1], 3, v[0:1]
	v_mov_b32_e32 v2, s3
	v_add_co_u32_e32 v30, vcc, s2, v30
	v_mov_b32_e32 v23, v17
	v_or_b32_e32 v22, 0x300, v16
	v_addc_co_u32_e32 v31, vcc, v2, v31, vcc
	v_lshlrev_b64 v[22:23], 3, v[22:23]
	v_mov_b32_e32 v33, s3
	v_add_co_u32_e32 v32, vcc, s2, v0
	v_mov_b32_e32 v25, v17
	v_or_b32_e32 v24, 0x400, v16
	v_addc_co_u32_e32 v33, vcc, v33, v1, vcc
	;; [unrolled: 6-line block ×4, first 2 shown]
	v_lshlrev_b64 v[28:29], 3, v[28:29]
	v_mov_b32_e32 v37, s3
	v_or_b32_e32 v16, 0x700, v16
	s_waitcnt vmcnt(6)
	ds_write2st64_b64 v15, v[3:4], v[5:6] offset1:1
	s_waitcnt vmcnt(4)
	ds_write2st64_b64 v15, v[7:8], v[9:10] offset0:2 offset1:3
	s_waitcnt vmcnt(2)
	ds_write2st64_b64 v15, v[11:12], v[13:14] offset0:4 offset1:5
	;; [unrolled: 2-line block ×3, first 2 shown]
	; wave barrier
	ds_read_b128 v[0:3], v34
	ds_read_b128 v[4:7], v34 offset:16
	ds_read_b128 v[8:11], v34 offset:32
	;; [unrolled: 1-line block ×3, first 2 shown]
	v_add_co_u32_e32 v18, vcc, s2, v26
	v_addc_co_u32_e32 v19, vcc, v37, v27, vcc
	s_waitcnt lgkmcnt(3)
	global_store_dwordx2 v[30:31], v[0:1], off
	global_store_dwordx2 v[30:31], v[2:3], off offset:2048
	s_waitcnt lgkmcnt(2)
	global_store_dwordx2 v[32:33], v[4:5], off
	global_store_dwordx2 v[22:23], v[6:7], off
	s_waitcnt lgkmcnt(1)
	global_store_dwordx2 v[24:25], v[8:9], off
	global_store_dwordx2 v[18:19], v[10:11], off
	v_mov_b32_e32 v1, s3
	v_add_co_u32_e32 v0, vcc, s2, v28
	v_addc_co_u32_e32 v1, vcc, v1, v29, vcc
	s_waitcnt lgkmcnt(0)
	global_store_dwordx2 v[0:1], v[12:13], off
	v_lshlrev_b64 v[0:1], 3, v[16:17]
	v_mov_b32_e32 v2, s3
	v_add_co_u32_e32 v0, vcc, s2, v0
	v_addc_co_u32_e32 v1, vcc, v2, v1, vcc
	global_store_dwordx2 v[0:1], v[14:15], off
	s_endpgm
	.section	.rodata,"a",@progbits
	.p2align	6, 0x0
	.amdhsa_kernel _Z16warp_load_kernelILj256ELj8ELj64ELN6hipcub17WarpLoadAlgorithmE3EdEvPT3_S3_
		.amdhsa_group_segment_fixed_size 16384
		.amdhsa_private_segment_fixed_size 0
		.amdhsa_kernarg_size 16
		.amdhsa_user_sgpr_count 6
		.amdhsa_user_sgpr_private_segment_buffer 1
		.amdhsa_user_sgpr_dispatch_ptr 0
		.amdhsa_user_sgpr_queue_ptr 0
		.amdhsa_user_sgpr_kernarg_segment_ptr 1
		.amdhsa_user_sgpr_dispatch_id 0
		.amdhsa_user_sgpr_flat_scratch_init 0
		.amdhsa_user_sgpr_private_segment_size 0
		.amdhsa_uses_dynamic_stack 0
		.amdhsa_system_sgpr_private_segment_wavefront_offset 0
		.amdhsa_system_sgpr_workgroup_id_x 1
		.amdhsa_system_sgpr_workgroup_id_y 0
		.amdhsa_system_sgpr_workgroup_id_z 0
		.amdhsa_system_sgpr_workgroup_info 0
		.amdhsa_system_vgpr_workitem_id 0
		.amdhsa_next_free_vgpr 49
		.amdhsa_next_free_sgpr 98
		.amdhsa_reserve_vcc 1
		.amdhsa_reserve_flat_scratch 0
		.amdhsa_float_round_mode_32 0
		.amdhsa_float_round_mode_16_64 0
		.amdhsa_float_denorm_mode_32 3
		.amdhsa_float_denorm_mode_16_64 3
		.amdhsa_dx10_clamp 1
		.amdhsa_ieee_mode 1
		.amdhsa_fp16_overflow 0
		.amdhsa_exception_fp_ieee_invalid_op 0
		.amdhsa_exception_fp_denorm_src 0
		.amdhsa_exception_fp_ieee_div_zero 0
		.amdhsa_exception_fp_ieee_overflow 0
		.amdhsa_exception_fp_ieee_underflow 0
		.amdhsa_exception_fp_ieee_inexact 0
		.amdhsa_exception_int_div_zero 0
	.end_amdhsa_kernel
	.section	.text._Z16warp_load_kernelILj256ELj8ELj64ELN6hipcub17WarpLoadAlgorithmE3EdEvPT3_S3_,"axG",@progbits,_Z16warp_load_kernelILj256ELj8ELj64ELN6hipcub17WarpLoadAlgorithmE3EdEvPT3_S3_,comdat
.Lfunc_end63:
	.size	_Z16warp_load_kernelILj256ELj8ELj64ELN6hipcub17WarpLoadAlgorithmE3EdEvPT3_S3_, .Lfunc_end63-_Z16warp_load_kernelILj256ELj8ELj64ELN6hipcub17WarpLoadAlgorithmE3EdEvPT3_S3_
                                        ; -- End function
	.set _Z16warp_load_kernelILj256ELj8ELj64ELN6hipcub17WarpLoadAlgorithmE3EdEvPT3_S3_.num_vgpr, 38
	.set _Z16warp_load_kernelILj256ELj8ELj64ELN6hipcub17WarpLoadAlgorithmE3EdEvPT3_S3_.num_agpr, 0
	.set _Z16warp_load_kernelILj256ELj8ELj64ELN6hipcub17WarpLoadAlgorithmE3EdEvPT3_S3_.numbered_sgpr, 7
	.set _Z16warp_load_kernelILj256ELj8ELj64ELN6hipcub17WarpLoadAlgorithmE3EdEvPT3_S3_.num_named_barrier, 0
	.set _Z16warp_load_kernelILj256ELj8ELj64ELN6hipcub17WarpLoadAlgorithmE3EdEvPT3_S3_.private_seg_size, 0
	.set _Z16warp_load_kernelILj256ELj8ELj64ELN6hipcub17WarpLoadAlgorithmE3EdEvPT3_S3_.uses_vcc, 1
	.set _Z16warp_load_kernelILj256ELj8ELj64ELN6hipcub17WarpLoadAlgorithmE3EdEvPT3_S3_.uses_flat_scratch, 0
	.set _Z16warp_load_kernelILj256ELj8ELj64ELN6hipcub17WarpLoadAlgorithmE3EdEvPT3_S3_.has_dyn_sized_stack, 0
	.set _Z16warp_load_kernelILj256ELj8ELj64ELN6hipcub17WarpLoadAlgorithmE3EdEvPT3_S3_.has_recursion, 0
	.set _Z16warp_load_kernelILj256ELj8ELj64ELN6hipcub17WarpLoadAlgorithmE3EdEvPT3_S3_.has_indirect_call, 0
	.section	.AMDGPU.csdata,"",@progbits
; Kernel info:
; codeLenInByte = 552
; TotalNumSgprs: 11
; NumVgprs: 38
; ScratchSize: 0
; MemoryBound: 1
; FloatMode: 240
; IeeeMode: 1
; LDSByteSize: 16384 bytes/workgroup (compile time only)
; SGPRBlocks: 12
; VGPRBlocks: 12
; NumSGPRsForWavesPerEU: 102
; NumVGPRsForWavesPerEU: 49
; Occupancy: 4
; WaveLimiterHint : 1
; COMPUTE_PGM_RSRC2:SCRATCH_EN: 0
; COMPUTE_PGM_RSRC2:USER_SGPR: 6
; COMPUTE_PGM_RSRC2:TRAP_HANDLER: 0
; COMPUTE_PGM_RSRC2:TGID_X_EN: 1
; COMPUTE_PGM_RSRC2:TGID_Y_EN: 0
; COMPUTE_PGM_RSRC2:TGID_Z_EN: 0
; COMPUTE_PGM_RSRC2:TIDIG_COMP_CNT: 0
	.section	.text._Z16warp_load_kernelILj256ELj16ELj64ELN6hipcub17WarpLoadAlgorithmE0EdEvPT3_S3_,"axG",@progbits,_Z16warp_load_kernelILj256ELj16ELj64ELN6hipcub17WarpLoadAlgorithmE0EdEvPT3_S3_,comdat
	.protected	_Z16warp_load_kernelILj256ELj16ELj64ELN6hipcub17WarpLoadAlgorithmE0EdEvPT3_S3_ ; -- Begin function _Z16warp_load_kernelILj256ELj16ELj64ELN6hipcub17WarpLoadAlgorithmE0EdEvPT3_S3_
	.globl	_Z16warp_load_kernelILj256ELj16ELj64ELN6hipcub17WarpLoadAlgorithmE0EdEvPT3_S3_
	.p2align	8
	.type	_Z16warp_load_kernelILj256ELj16ELj64ELN6hipcub17WarpLoadAlgorithmE0EdEvPT3_S3_,@function
_Z16warp_load_kernelILj256ELj16ELj64ELN6hipcub17WarpLoadAlgorithmE0EdEvPT3_S3_: ; @_Z16warp_load_kernelILj256ELj16ELj64ELN6hipcub17WarpLoadAlgorithmE0EdEvPT3_S3_
; %bb.0:
	v_mbcnt_lo_u32_b32 v1, -1, 0
	s_load_dwordx4 s[0:3], s[4:5], 0x0
	v_mbcnt_hi_u32_b32 v3, -1, v1
	v_lshlrev_b32_e32 v1, 4, v0
	s_lshl_b32 s4, s6, 12
	v_and_b32_e32 v1, 0xc00, v1
	v_or_b32_e32 v33, s4, v1
	v_mov_b32_e32 v34, 0
	v_lshlrev_b64 v[1:2], 3, v[33:34]
	s_waitcnt lgkmcnt(0)
	v_mov_b32_e32 v4, s1
	v_add_co_u32_e32 v1, vcc, s0, v1
	v_addc_co_u32_e32 v2, vcc, v4, v2, vcc
	v_lshlrev_b32_e32 v3, 7, v3
	v_add_co_u32_e32 v35, vcc, v1, v3
	v_addc_co_u32_e32 v36, vcc, 0, v2, vcc
	global_load_dwordx4 v[1:4], v[35:36], off
	global_load_dwordx4 v[5:8], v[35:36], off offset:16
	global_load_dwordx4 v[9:12], v[35:36], off offset:32
	;; [unrolled: 1-line block ×4, first 2 shown]
	v_or_b32_e32 v33, s4, v0
	v_lshlrev_b64 v[21:22], 3, v[33:34]
	v_mov_b32_e32 v0, s3
	v_add_co_u32_e32 v37, vcc, s2, v21
	v_addc_co_u32_e32 v38, vcc, v0, v22, vcc
	global_load_dwordx4 v[21:24], v[35:36], off offset:80
	global_load_dwordx4 v[25:28], v[35:36], off offset:112
	;; [unrolled: 1-line block ×3, first 2 shown]
	v_or_b32_e32 v0, 0x200, v33
	s_waitcnt vmcnt(7)
	global_store_dwordx2 v[37:38], v[1:2], off
	global_store_dwordx2 v[37:38], v[3:4], off offset:2048
	v_mov_b32_e32 v1, v34
	v_lshlrev_b64 v[0:1], 3, v[0:1]
	v_mov_b32_e32 v2, s3
	v_add_co_u32_e32 v0, vcc, s2, v0
	v_addc_co_u32_e32 v1, vcc, v2, v1, vcc
	v_mov_b32_e32 v3, v34
	v_or_b32_e32 v2, 0x300, v33
	v_lshlrev_b64 v[2:3], 3, v[2:3]
	v_mov_b32_e32 v4, s3
	v_add_co_u32_e32 v2, vcc, s2, v2
	v_addc_co_u32_e32 v3, vcc, v4, v3, vcc
	v_mov_b32_e32 v4, v34
	s_waitcnt vmcnt(8)
	global_store_dwordx2 v[2:3], v[7:8], off
	v_or_b32_e32 v3, 0x400, v33
	v_lshlrev_b64 v[2:3], 3, v[3:4]
	global_store_dwordx2 v[0:1], v[5:6], off
	v_mov_b32_e32 v1, v34
	v_or_b32_e32 v0, 0x500, v33
	v_mov_b32_e32 v7, s3
	v_lshlrev_b64 v[0:1], 3, v[0:1]
	v_add_co_u32_e32 v2, vcc, s2, v2
	v_mov_b32_e32 v6, v34
	v_or_b32_e32 v5, 0x600, v33
	v_addc_co_u32_e32 v3, vcc, v7, v3, vcc
	v_mov_b32_e32 v8, s3
	v_lshlrev_b64 v[4:5], 3, v[5:6]
	v_add_co_u32_e32 v0, vcc, s2, v0
	v_addc_co_u32_e32 v1, vcc, v8, v1, vcc
	v_mov_b32_e32 v6, s3
	v_add_co_u32_e32 v4, vcc, s2, v4
	v_addc_co_u32_e32 v5, vcc, v6, v5, vcc
	v_mov_b32_e32 v7, v34
	v_or_b32_e32 v6, 0x700, v33
	v_lshlrev_b64 v[6:7], 3, v[6:7]
	s_waitcnt vmcnt(9)
	global_store_dwordx2 v[2:3], v[9:10], off
	global_store_dwordx2 v[0:1], v[11:12], off
	v_add_co_u32_e32 v0, vcc, s2, v6
	v_addc_co_u32_e32 v1, vcc, v8, v7, vcc
	s_waitcnt vmcnt(10)
	global_store_dwordx2 v[4:5], v[13:14], off
	global_store_dwordx2 v[0:1], v[15:16], off
	v_or_b32_e32 v0, 0x800, v33
	v_mov_b32_e32 v1, v34
	v_lshlrev_b64 v[0:1], 3, v[0:1]
	v_mov_b32_e32 v2, s3
	v_add_co_u32_e32 v0, vcc, s2, v0
	v_addc_co_u32_e32 v1, vcc, v2, v1, vcc
	v_or_b32_e32 v2, 0x900, v33
	v_mov_b32_e32 v3, v34
	v_lshlrev_b64 v[2:3], 3, v[2:3]
	v_mov_b32_e32 v4, s3
	v_add_co_u32_e32 v2, vcc, s2, v2
	v_addc_co_u32_e32 v3, vcc, v4, v3, vcc
	s_waitcnt vmcnt(11)
	global_store_dwordx2 v[0:1], v[17:18], off
	global_store_dwordx2 v[2:3], v[19:20], off
	v_or_b32_e32 v0, 0xa00, v33
	v_mov_b32_e32 v1, v34
	v_lshlrev_b64 v[0:1], 3, v[0:1]
	v_mov_b32_e32 v2, s3
	v_add_co_u32_e32 v0, vcc, s2, v0
	v_addc_co_u32_e32 v1, vcc, v2, v1, vcc
	s_waitcnt vmcnt(12)
	global_store_dwordx2 v[0:1], v[21:22], off
	v_or_b32_e32 v0, 0xb00, v33
	v_mov_b32_e32 v1, v34
	v_lshlrev_b64 v[0:1], 3, v[0:1]
	v_add_co_u32_e32 v0, vcc, s2, v0
	v_addc_co_u32_e32 v1, vcc, v2, v1, vcc
	global_store_dwordx2 v[0:1], v[23:24], off
	v_or_b32_e32 v0, 0xc00, v33
	v_mov_b32_e32 v1, v34
	v_lshlrev_b64 v[0:1], 3, v[0:1]
	v_add_co_u32_e32 v0, vcc, s2, v0
	v_addc_co_u32_e32 v1, vcc, v2, v1, vcc
	s_waitcnt vmcnt(12)
	global_store_dwordx2 v[0:1], v[29:30], off
	v_or_b32_e32 v0, 0xd00, v33
	v_mov_b32_e32 v1, v34
	v_lshlrev_b64 v[0:1], 3, v[0:1]
	v_add_co_u32_e32 v0, vcc, s2, v0
	v_addc_co_u32_e32 v1, vcc, v2, v1, vcc
	global_store_dwordx2 v[0:1], v[31:32], off
	v_or_b32_e32 v0, 0xe00, v33
	v_mov_b32_e32 v1, v34
	v_lshlrev_b64 v[0:1], 3, v[0:1]
	v_or_b32_e32 v33, 0xf00, v33
	v_add_co_u32_e32 v0, vcc, s2, v0
	v_addc_co_u32_e32 v1, vcc, v2, v1, vcc
	global_store_dwordx2 v[0:1], v[25:26], off
	v_lshlrev_b64 v[0:1], 3, v[33:34]
	v_add_co_u32_e32 v0, vcc, s2, v0
	v_addc_co_u32_e32 v1, vcc, v2, v1, vcc
	global_store_dwordx2 v[0:1], v[27:28], off
	s_endpgm
	.section	.rodata,"a",@progbits
	.p2align	6, 0x0
	.amdhsa_kernel _Z16warp_load_kernelILj256ELj16ELj64ELN6hipcub17WarpLoadAlgorithmE0EdEvPT3_S3_
		.amdhsa_group_segment_fixed_size 0
		.amdhsa_private_segment_fixed_size 0
		.amdhsa_kernarg_size 16
		.amdhsa_user_sgpr_count 6
		.amdhsa_user_sgpr_private_segment_buffer 1
		.amdhsa_user_sgpr_dispatch_ptr 0
		.amdhsa_user_sgpr_queue_ptr 0
		.amdhsa_user_sgpr_kernarg_segment_ptr 1
		.amdhsa_user_sgpr_dispatch_id 0
		.amdhsa_user_sgpr_flat_scratch_init 0
		.amdhsa_user_sgpr_private_segment_size 0
		.amdhsa_uses_dynamic_stack 0
		.amdhsa_system_sgpr_private_segment_wavefront_offset 0
		.amdhsa_system_sgpr_workgroup_id_x 1
		.amdhsa_system_sgpr_workgroup_id_y 0
		.amdhsa_system_sgpr_workgroup_id_z 0
		.amdhsa_system_sgpr_workgroup_info 0
		.amdhsa_system_vgpr_workitem_id 0
		.amdhsa_next_free_vgpr 39
		.amdhsa_next_free_sgpr 7
		.amdhsa_reserve_vcc 1
		.amdhsa_reserve_flat_scratch 0
		.amdhsa_float_round_mode_32 0
		.amdhsa_float_round_mode_16_64 0
		.amdhsa_float_denorm_mode_32 3
		.amdhsa_float_denorm_mode_16_64 3
		.amdhsa_dx10_clamp 1
		.amdhsa_ieee_mode 1
		.amdhsa_fp16_overflow 0
		.amdhsa_exception_fp_ieee_invalid_op 0
		.amdhsa_exception_fp_denorm_src 0
		.amdhsa_exception_fp_ieee_div_zero 0
		.amdhsa_exception_fp_ieee_overflow 0
		.amdhsa_exception_fp_ieee_underflow 0
		.amdhsa_exception_fp_ieee_inexact 0
		.amdhsa_exception_int_div_zero 0
	.end_amdhsa_kernel
	.section	.text._Z16warp_load_kernelILj256ELj16ELj64ELN6hipcub17WarpLoadAlgorithmE0EdEvPT3_S3_,"axG",@progbits,_Z16warp_load_kernelILj256ELj16ELj64ELN6hipcub17WarpLoadAlgorithmE0EdEvPT3_S3_,comdat
.Lfunc_end64:
	.size	_Z16warp_load_kernelILj256ELj16ELj64ELN6hipcub17WarpLoadAlgorithmE0EdEvPT3_S3_, .Lfunc_end64-_Z16warp_load_kernelILj256ELj16ELj64ELN6hipcub17WarpLoadAlgorithmE0EdEvPT3_S3_
                                        ; -- End function
	.set _Z16warp_load_kernelILj256ELj16ELj64ELN6hipcub17WarpLoadAlgorithmE0EdEvPT3_S3_.num_vgpr, 39
	.set _Z16warp_load_kernelILj256ELj16ELj64ELN6hipcub17WarpLoadAlgorithmE0EdEvPT3_S3_.num_agpr, 0
	.set _Z16warp_load_kernelILj256ELj16ELj64ELN6hipcub17WarpLoadAlgorithmE0EdEvPT3_S3_.numbered_sgpr, 7
	.set _Z16warp_load_kernelILj256ELj16ELj64ELN6hipcub17WarpLoadAlgorithmE0EdEvPT3_S3_.num_named_barrier, 0
	.set _Z16warp_load_kernelILj256ELj16ELj64ELN6hipcub17WarpLoadAlgorithmE0EdEvPT3_S3_.private_seg_size, 0
	.set _Z16warp_load_kernelILj256ELj16ELj64ELN6hipcub17WarpLoadAlgorithmE0EdEvPT3_S3_.uses_vcc, 1
	.set _Z16warp_load_kernelILj256ELj16ELj64ELN6hipcub17WarpLoadAlgorithmE0EdEvPT3_S3_.uses_flat_scratch, 0
	.set _Z16warp_load_kernelILj256ELj16ELj64ELN6hipcub17WarpLoadAlgorithmE0EdEvPT3_S3_.has_dyn_sized_stack, 0
	.set _Z16warp_load_kernelILj256ELj16ELj64ELN6hipcub17WarpLoadAlgorithmE0EdEvPT3_S3_.has_recursion, 0
	.set _Z16warp_load_kernelILj256ELj16ELj64ELN6hipcub17WarpLoadAlgorithmE0EdEvPT3_S3_.has_indirect_call, 0
	.section	.AMDGPU.csdata,"",@progbits
; Kernel info:
; codeLenInByte = 752
; TotalNumSgprs: 11
; NumVgprs: 39
; ScratchSize: 0
; MemoryBound: 1
; FloatMode: 240
; IeeeMode: 1
; LDSByteSize: 0 bytes/workgroup (compile time only)
; SGPRBlocks: 1
; VGPRBlocks: 9
; NumSGPRsForWavesPerEU: 11
; NumVGPRsForWavesPerEU: 39
; Occupancy: 6
; WaveLimiterHint : 1
; COMPUTE_PGM_RSRC2:SCRATCH_EN: 0
; COMPUTE_PGM_RSRC2:USER_SGPR: 6
; COMPUTE_PGM_RSRC2:TRAP_HANDLER: 0
; COMPUTE_PGM_RSRC2:TGID_X_EN: 1
; COMPUTE_PGM_RSRC2:TGID_Y_EN: 0
; COMPUTE_PGM_RSRC2:TGID_Z_EN: 0
; COMPUTE_PGM_RSRC2:TIDIG_COMP_CNT: 0
	.section	.text._Z16warp_load_kernelILj256ELj16ELj64ELN6hipcub17WarpLoadAlgorithmE1EdEvPT3_S3_,"axG",@progbits,_Z16warp_load_kernelILj256ELj16ELj64ELN6hipcub17WarpLoadAlgorithmE1EdEvPT3_S3_,comdat
	.protected	_Z16warp_load_kernelILj256ELj16ELj64ELN6hipcub17WarpLoadAlgorithmE1EdEvPT3_S3_ ; -- Begin function _Z16warp_load_kernelILj256ELj16ELj64ELN6hipcub17WarpLoadAlgorithmE1EdEvPT3_S3_
	.globl	_Z16warp_load_kernelILj256ELj16ELj64ELN6hipcub17WarpLoadAlgorithmE1EdEvPT3_S3_
	.p2align	8
	.type	_Z16warp_load_kernelILj256ELj16ELj64ELN6hipcub17WarpLoadAlgorithmE1EdEvPT3_S3_,@function
_Z16warp_load_kernelILj256ELj16ELj64ELN6hipcub17WarpLoadAlgorithmE1EdEvPT3_S3_: ; @_Z16warp_load_kernelILj256ELj16ELj64ELN6hipcub17WarpLoadAlgorithmE1EdEvPT3_S3_
; %bb.0:
	v_mbcnt_lo_u32_b32 v1, -1, 0
	s_load_dwordx4 s[0:3], s[4:5], 0x0
	v_mbcnt_hi_u32_b32 v5, -1, v1
	v_lshlrev_b32_e32 v1, 4, v0
	s_lshl_b32 s4, s6, 12
	v_and_b32_e32 v1, 0xc00, v1
	v_or_b32_e32 v1, s4, v1
	v_mov_b32_e32 v2, 0
	v_lshlrev_b64 v[3:4], 3, v[1:2]
	s_waitcnt lgkmcnt(0)
	v_mov_b32_e32 v1, s1
	v_add_co_u32_e32 v3, vcc, s0, v3
	v_addc_co_u32_e32 v1, vcc, v1, v4, vcc
	v_lshlrev_b32_e32 v4, 3, v5
	v_add_co_u32_e32 v3, vcc, v3, v4
	v_lshlrev_b32_e32 v4, 7, v5
	v_addc_co_u32_e32 v1, vcc, 0, v1, vcc
	v_and_b32_e32 v4, 0x2000, v4
	v_add_co_u32_e32 v3, vcc, v3, v4
	v_addc_co_u32_e32 v4, vcc, 0, v1, vcc
	global_load_dwordx2 v[5:6], v[3:4], off
	global_load_dwordx2 v[7:8], v[3:4], off offset:512
	global_load_dwordx2 v[9:10], v[3:4], off offset:1024
	global_load_dwordx2 v[11:12], v[3:4], off offset:1536
	global_load_dwordx2 v[13:14], v[3:4], off offset:2048
	global_load_dwordx2 v[15:16], v[3:4], off offset:2560
	global_load_dwordx2 v[17:18], v[3:4], off offset:3072
	global_load_dwordx2 v[19:20], v[3:4], off offset:3584
	s_movk_i32 s0, 0x1000
	v_add_co_u32_e32 v3, vcc, s0, v3
	v_addc_co_u32_e32 v4, vcc, 0, v4, vcc
	global_load_dwordx2 v[21:22], v[3:4], off
	global_load_dwordx2 v[27:28], v[3:4], off offset:512
	v_or_b32_e32 v1, s4, v0
	v_lshlrev_b64 v[25:26], 3, v[1:2]
	v_mov_b32_e32 v24, v2
	v_or_b32_e32 v23, 0x200, v1
	v_mov_b32_e32 v0, s3
	v_lshlrev_b64 v[23:24], 3, v[23:24]
	v_add_co_u32_e32 v25, vcc, s2, v25
	v_addc_co_u32_e32 v26, vcc, v0, v26, vcc
	v_mov_b32_e32 v29, s3
	v_add_co_u32_e32 v23, vcc, s2, v23
	v_addc_co_u32_e32 v24, vcc, v29, v24, vcc
	global_load_dwordx2 v[29:30], v[3:4], off offset:1024
	global_load_dwordx2 v[31:32], v[3:4], off offset:1536
	;; [unrolled: 1-line block ×6, first 2 shown]
	v_mov_b32_e32 v4, v2
	v_or_b32_e32 v3, 0x300, v1
	v_lshlrev_b64 v[3:4], 3, v[3:4]
	s_waitcnt vmcnt(15)
	global_store_dwordx2 v[25:26], v[5:6], off
	s_waitcnt vmcnt(15)
	global_store_dwordx2 v[25:26], v[7:8], off offset:2048
	v_mov_b32_e32 v6, v2
	v_or_b32_e32 v5, 0x400, v1
	v_add_co_u32_e32 v3, vcc, s2, v3
	v_lshlrev_b64 v[5:6], 3, v[5:6]
	v_addc_co_u32_e32 v4, vcc, v0, v4, vcc
	v_mov_b32_e32 v8, v2
	v_or_b32_e32 v7, 0x500, v1
	v_add_co_u32_e32 v5, vcc, s2, v5
	v_lshlrev_b64 v[7:8], 3, v[7:8]
	v_addc_co_u32_e32 v6, vcc, v0, v6, vcc
	s_waitcnt vmcnt(15)
	global_store_dwordx2 v[23:24], v[9:10], off
	s_waitcnt vmcnt(15)
	global_store_dwordx2 v[3:4], v[11:12], off
	;; [unrolled: 2-line block ×3, first 2 shown]
	v_add_co_u32_e32 v3, vcc, s2, v7
	v_addc_co_u32_e32 v4, vcc, v0, v8, vcc
	s_waitcnt vmcnt(15)
	global_store_dwordx2 v[3:4], v[15:16], off
	v_or_b32_e32 v3, 0x600, v1
	v_mov_b32_e32 v4, v2
	v_lshlrev_b64 v[3:4], 3, v[3:4]
	v_add_co_u32_e32 v3, vcc, s2, v3
	v_addc_co_u32_e32 v4, vcc, v0, v4, vcc
	s_waitcnt vmcnt(15)
	global_store_dwordx2 v[3:4], v[17:18], off
	v_or_b32_e32 v3, 0x700, v1
	v_mov_b32_e32 v4, v2
	v_lshlrev_b64 v[3:4], 3, v[3:4]
	;; [unrolled: 7-line block ×9, first 2 shown]
	v_or_b32_e32 v1, 0xf00, v1
	v_add_co_u32_e32 v3, vcc, s2, v3
	v_addc_co_u32_e32 v4, vcc, v0, v4, vcc
	v_lshlrev_b64 v[0:1], 3, v[1:2]
	v_mov_b32_e32 v2, s3
	v_add_co_u32_e32 v0, vcc, s2, v0
	v_addc_co_u32_e32 v1, vcc, v2, v1, vcc
	s_waitcnt vmcnt(15)
	global_store_dwordx2 v[3:4], v[37:38], off
	s_waitcnt vmcnt(15)
	global_store_dwordx2 v[0:1], v[39:40], off
	s_endpgm
	.section	.rodata,"a",@progbits
	.p2align	6, 0x0
	.amdhsa_kernel _Z16warp_load_kernelILj256ELj16ELj64ELN6hipcub17WarpLoadAlgorithmE1EdEvPT3_S3_
		.amdhsa_group_segment_fixed_size 0
		.amdhsa_private_segment_fixed_size 0
		.amdhsa_kernarg_size 16
		.amdhsa_user_sgpr_count 6
		.amdhsa_user_sgpr_private_segment_buffer 1
		.amdhsa_user_sgpr_dispatch_ptr 0
		.amdhsa_user_sgpr_queue_ptr 0
		.amdhsa_user_sgpr_kernarg_segment_ptr 1
		.amdhsa_user_sgpr_dispatch_id 0
		.amdhsa_user_sgpr_flat_scratch_init 0
		.amdhsa_user_sgpr_private_segment_size 0
		.amdhsa_uses_dynamic_stack 0
		.amdhsa_system_sgpr_private_segment_wavefront_offset 0
		.amdhsa_system_sgpr_workgroup_id_x 1
		.amdhsa_system_sgpr_workgroup_id_y 0
		.amdhsa_system_sgpr_workgroup_id_z 0
		.amdhsa_system_sgpr_workgroup_info 0
		.amdhsa_system_vgpr_workitem_id 0
		.amdhsa_next_free_vgpr 41
		.amdhsa_next_free_sgpr 7
		.amdhsa_reserve_vcc 1
		.amdhsa_reserve_flat_scratch 0
		.amdhsa_float_round_mode_32 0
		.amdhsa_float_round_mode_16_64 0
		.amdhsa_float_denorm_mode_32 3
		.amdhsa_float_denorm_mode_16_64 3
		.amdhsa_dx10_clamp 1
		.amdhsa_ieee_mode 1
		.amdhsa_fp16_overflow 0
		.amdhsa_exception_fp_ieee_invalid_op 0
		.amdhsa_exception_fp_denorm_src 0
		.amdhsa_exception_fp_ieee_div_zero 0
		.amdhsa_exception_fp_ieee_overflow 0
		.amdhsa_exception_fp_ieee_underflow 0
		.amdhsa_exception_fp_ieee_inexact 0
		.amdhsa_exception_int_div_zero 0
	.end_amdhsa_kernel
	.section	.text._Z16warp_load_kernelILj256ELj16ELj64ELN6hipcub17WarpLoadAlgorithmE1EdEvPT3_S3_,"axG",@progbits,_Z16warp_load_kernelILj256ELj16ELj64ELN6hipcub17WarpLoadAlgorithmE1EdEvPT3_S3_,comdat
.Lfunc_end65:
	.size	_Z16warp_load_kernelILj256ELj16ELj64ELN6hipcub17WarpLoadAlgorithmE1EdEvPT3_S3_, .Lfunc_end65-_Z16warp_load_kernelILj256ELj16ELj64ELN6hipcub17WarpLoadAlgorithmE1EdEvPT3_S3_
                                        ; -- End function
	.set _Z16warp_load_kernelILj256ELj16ELj64ELN6hipcub17WarpLoadAlgorithmE1EdEvPT3_S3_.num_vgpr, 41
	.set _Z16warp_load_kernelILj256ELj16ELj64ELN6hipcub17WarpLoadAlgorithmE1EdEvPT3_S3_.num_agpr, 0
	.set _Z16warp_load_kernelILj256ELj16ELj64ELN6hipcub17WarpLoadAlgorithmE1EdEvPT3_S3_.numbered_sgpr, 7
	.set _Z16warp_load_kernelILj256ELj16ELj64ELN6hipcub17WarpLoadAlgorithmE1EdEvPT3_S3_.num_named_barrier, 0
	.set _Z16warp_load_kernelILj256ELj16ELj64ELN6hipcub17WarpLoadAlgorithmE1EdEvPT3_S3_.private_seg_size, 0
	.set _Z16warp_load_kernelILj256ELj16ELj64ELN6hipcub17WarpLoadAlgorithmE1EdEvPT3_S3_.uses_vcc, 1
	.set _Z16warp_load_kernelILj256ELj16ELj64ELN6hipcub17WarpLoadAlgorithmE1EdEvPT3_S3_.uses_flat_scratch, 0
	.set _Z16warp_load_kernelILj256ELj16ELj64ELN6hipcub17WarpLoadAlgorithmE1EdEvPT3_S3_.has_dyn_sized_stack, 0
	.set _Z16warp_load_kernelILj256ELj16ELj64ELN6hipcub17WarpLoadAlgorithmE1EdEvPT3_S3_.has_recursion, 0
	.set _Z16warp_load_kernelILj256ELj16ELj64ELN6hipcub17WarpLoadAlgorithmE1EdEvPT3_S3_.has_indirect_call, 0
	.section	.AMDGPU.csdata,"",@progbits
; Kernel info:
; codeLenInByte = 860
; TotalNumSgprs: 11
; NumVgprs: 41
; ScratchSize: 0
; MemoryBound: 1
; FloatMode: 240
; IeeeMode: 1
; LDSByteSize: 0 bytes/workgroup (compile time only)
; SGPRBlocks: 1
; VGPRBlocks: 10
; NumSGPRsForWavesPerEU: 11
; NumVGPRsForWavesPerEU: 41
; Occupancy: 5
; WaveLimiterHint : 1
; COMPUTE_PGM_RSRC2:SCRATCH_EN: 0
; COMPUTE_PGM_RSRC2:USER_SGPR: 6
; COMPUTE_PGM_RSRC2:TRAP_HANDLER: 0
; COMPUTE_PGM_RSRC2:TGID_X_EN: 1
; COMPUTE_PGM_RSRC2:TGID_Y_EN: 0
; COMPUTE_PGM_RSRC2:TGID_Z_EN: 0
; COMPUTE_PGM_RSRC2:TIDIG_COMP_CNT: 0
	.section	.text._Z16warp_load_kernelILj256ELj16ELj64ELN6hipcub17WarpLoadAlgorithmE2EdEvPT3_S3_,"axG",@progbits,_Z16warp_load_kernelILj256ELj16ELj64ELN6hipcub17WarpLoadAlgorithmE2EdEvPT3_S3_,comdat
	.protected	_Z16warp_load_kernelILj256ELj16ELj64ELN6hipcub17WarpLoadAlgorithmE2EdEvPT3_S3_ ; -- Begin function _Z16warp_load_kernelILj256ELj16ELj64ELN6hipcub17WarpLoadAlgorithmE2EdEvPT3_S3_
	.globl	_Z16warp_load_kernelILj256ELj16ELj64ELN6hipcub17WarpLoadAlgorithmE2EdEvPT3_S3_
	.p2align	8
	.type	_Z16warp_load_kernelILj256ELj16ELj64ELN6hipcub17WarpLoadAlgorithmE2EdEvPT3_S3_,@function
_Z16warp_load_kernelILj256ELj16ELj64ELN6hipcub17WarpLoadAlgorithmE2EdEvPT3_S3_: ; @_Z16warp_load_kernelILj256ELj16ELj64ELN6hipcub17WarpLoadAlgorithmE2EdEvPT3_S3_
; %bb.0:
	v_mbcnt_lo_u32_b32 v1, -1, 0
	s_load_dwordx4 s[0:3], s[4:5], 0x0
	v_mbcnt_hi_u32_b32 v3, -1, v1
	v_lshlrev_b32_e32 v1, 4, v0
	s_lshl_b32 s4, s6, 12
	v_and_b32_e32 v1, 0xc00, v1
	v_or_b32_e32 v33, s4, v1
	v_mov_b32_e32 v34, 0
	v_lshlrev_b64 v[1:2], 3, v[33:34]
	s_waitcnt lgkmcnt(0)
	v_mov_b32_e32 v4, s1
	v_add_co_u32_e32 v1, vcc, s0, v1
	v_addc_co_u32_e32 v2, vcc, v4, v2, vcc
	v_lshlrev_b32_e32 v3, 7, v3
	v_add_co_u32_e32 v35, vcc, v1, v3
	v_addc_co_u32_e32 v36, vcc, 0, v2, vcc
	global_load_dwordx4 v[1:4], v[35:36], off
	global_load_dwordx4 v[5:8], v[35:36], off offset:16
	global_load_dwordx4 v[9:12], v[35:36], off offset:32
	;; [unrolled: 1-line block ×4, first 2 shown]
	v_or_b32_e32 v33, s4, v0
	v_lshlrev_b64 v[21:22], 3, v[33:34]
	v_mov_b32_e32 v0, s3
	v_add_co_u32_e32 v37, vcc, s2, v21
	v_addc_co_u32_e32 v38, vcc, v0, v22, vcc
	global_load_dwordx4 v[21:24], v[35:36], off offset:80
	global_load_dwordx4 v[25:28], v[35:36], off offset:112
	;; [unrolled: 1-line block ×3, first 2 shown]
	v_or_b32_e32 v0, 0x200, v33
	s_waitcnt vmcnt(7)
	global_store_dwordx2 v[37:38], v[1:2], off
	global_store_dwordx2 v[37:38], v[3:4], off offset:2048
	v_mov_b32_e32 v1, v34
	v_lshlrev_b64 v[0:1], 3, v[0:1]
	v_mov_b32_e32 v2, s3
	v_add_co_u32_e32 v0, vcc, s2, v0
	v_addc_co_u32_e32 v1, vcc, v2, v1, vcc
	v_mov_b32_e32 v3, v34
	v_or_b32_e32 v2, 0x300, v33
	v_lshlrev_b64 v[2:3], 3, v[2:3]
	v_mov_b32_e32 v4, s3
	v_add_co_u32_e32 v2, vcc, s2, v2
	v_addc_co_u32_e32 v3, vcc, v4, v3, vcc
	v_mov_b32_e32 v4, v34
	s_waitcnt vmcnt(8)
	global_store_dwordx2 v[2:3], v[7:8], off
	v_or_b32_e32 v3, 0x400, v33
	v_lshlrev_b64 v[2:3], 3, v[3:4]
	global_store_dwordx2 v[0:1], v[5:6], off
	v_mov_b32_e32 v1, v34
	v_or_b32_e32 v0, 0x500, v33
	v_mov_b32_e32 v7, s3
	v_lshlrev_b64 v[0:1], 3, v[0:1]
	v_add_co_u32_e32 v2, vcc, s2, v2
	v_mov_b32_e32 v6, v34
	v_or_b32_e32 v5, 0x600, v33
	v_addc_co_u32_e32 v3, vcc, v7, v3, vcc
	v_mov_b32_e32 v8, s3
	v_lshlrev_b64 v[4:5], 3, v[5:6]
	v_add_co_u32_e32 v0, vcc, s2, v0
	v_addc_co_u32_e32 v1, vcc, v8, v1, vcc
	v_mov_b32_e32 v6, s3
	v_add_co_u32_e32 v4, vcc, s2, v4
	v_addc_co_u32_e32 v5, vcc, v6, v5, vcc
	v_mov_b32_e32 v7, v34
	v_or_b32_e32 v6, 0x700, v33
	v_lshlrev_b64 v[6:7], 3, v[6:7]
	s_waitcnt vmcnt(9)
	global_store_dwordx2 v[2:3], v[9:10], off
	global_store_dwordx2 v[0:1], v[11:12], off
	v_add_co_u32_e32 v0, vcc, s2, v6
	v_addc_co_u32_e32 v1, vcc, v8, v7, vcc
	s_waitcnt vmcnt(10)
	global_store_dwordx2 v[4:5], v[13:14], off
	global_store_dwordx2 v[0:1], v[15:16], off
	v_or_b32_e32 v0, 0x800, v33
	v_mov_b32_e32 v1, v34
	v_lshlrev_b64 v[0:1], 3, v[0:1]
	v_mov_b32_e32 v2, s3
	v_add_co_u32_e32 v0, vcc, s2, v0
	v_addc_co_u32_e32 v1, vcc, v2, v1, vcc
	v_or_b32_e32 v2, 0x900, v33
	v_mov_b32_e32 v3, v34
	v_lshlrev_b64 v[2:3], 3, v[2:3]
	v_mov_b32_e32 v4, s3
	v_add_co_u32_e32 v2, vcc, s2, v2
	v_addc_co_u32_e32 v3, vcc, v4, v3, vcc
	s_waitcnt vmcnt(11)
	global_store_dwordx2 v[0:1], v[17:18], off
	global_store_dwordx2 v[2:3], v[19:20], off
	v_or_b32_e32 v0, 0xa00, v33
	v_mov_b32_e32 v1, v34
	v_lshlrev_b64 v[0:1], 3, v[0:1]
	v_mov_b32_e32 v2, s3
	v_add_co_u32_e32 v0, vcc, s2, v0
	v_addc_co_u32_e32 v1, vcc, v2, v1, vcc
	s_waitcnt vmcnt(12)
	global_store_dwordx2 v[0:1], v[21:22], off
	v_or_b32_e32 v0, 0xb00, v33
	v_mov_b32_e32 v1, v34
	v_lshlrev_b64 v[0:1], 3, v[0:1]
	v_add_co_u32_e32 v0, vcc, s2, v0
	v_addc_co_u32_e32 v1, vcc, v2, v1, vcc
	global_store_dwordx2 v[0:1], v[23:24], off
	v_or_b32_e32 v0, 0xc00, v33
	v_mov_b32_e32 v1, v34
	v_lshlrev_b64 v[0:1], 3, v[0:1]
	v_add_co_u32_e32 v0, vcc, s2, v0
	v_addc_co_u32_e32 v1, vcc, v2, v1, vcc
	s_waitcnt vmcnt(12)
	global_store_dwordx2 v[0:1], v[29:30], off
	v_or_b32_e32 v0, 0xd00, v33
	v_mov_b32_e32 v1, v34
	v_lshlrev_b64 v[0:1], 3, v[0:1]
	v_add_co_u32_e32 v0, vcc, s2, v0
	v_addc_co_u32_e32 v1, vcc, v2, v1, vcc
	global_store_dwordx2 v[0:1], v[31:32], off
	v_or_b32_e32 v0, 0xe00, v33
	v_mov_b32_e32 v1, v34
	v_lshlrev_b64 v[0:1], 3, v[0:1]
	v_or_b32_e32 v33, 0xf00, v33
	v_add_co_u32_e32 v0, vcc, s2, v0
	v_addc_co_u32_e32 v1, vcc, v2, v1, vcc
	global_store_dwordx2 v[0:1], v[25:26], off
	v_lshlrev_b64 v[0:1], 3, v[33:34]
	v_add_co_u32_e32 v0, vcc, s2, v0
	v_addc_co_u32_e32 v1, vcc, v2, v1, vcc
	global_store_dwordx2 v[0:1], v[27:28], off
	s_endpgm
	.section	.rodata,"a",@progbits
	.p2align	6, 0x0
	.amdhsa_kernel _Z16warp_load_kernelILj256ELj16ELj64ELN6hipcub17WarpLoadAlgorithmE2EdEvPT3_S3_
		.amdhsa_group_segment_fixed_size 0
		.amdhsa_private_segment_fixed_size 0
		.amdhsa_kernarg_size 16
		.amdhsa_user_sgpr_count 6
		.amdhsa_user_sgpr_private_segment_buffer 1
		.amdhsa_user_sgpr_dispatch_ptr 0
		.amdhsa_user_sgpr_queue_ptr 0
		.amdhsa_user_sgpr_kernarg_segment_ptr 1
		.amdhsa_user_sgpr_dispatch_id 0
		.amdhsa_user_sgpr_flat_scratch_init 0
		.amdhsa_user_sgpr_private_segment_size 0
		.amdhsa_uses_dynamic_stack 0
		.amdhsa_system_sgpr_private_segment_wavefront_offset 0
		.amdhsa_system_sgpr_workgroup_id_x 1
		.amdhsa_system_sgpr_workgroup_id_y 0
		.amdhsa_system_sgpr_workgroup_id_z 0
		.amdhsa_system_sgpr_workgroup_info 0
		.amdhsa_system_vgpr_workitem_id 0
		.amdhsa_next_free_vgpr 39
		.amdhsa_next_free_sgpr 7
		.amdhsa_reserve_vcc 1
		.amdhsa_reserve_flat_scratch 0
		.amdhsa_float_round_mode_32 0
		.amdhsa_float_round_mode_16_64 0
		.amdhsa_float_denorm_mode_32 3
		.amdhsa_float_denorm_mode_16_64 3
		.amdhsa_dx10_clamp 1
		.amdhsa_ieee_mode 1
		.amdhsa_fp16_overflow 0
		.amdhsa_exception_fp_ieee_invalid_op 0
		.amdhsa_exception_fp_denorm_src 0
		.amdhsa_exception_fp_ieee_div_zero 0
		.amdhsa_exception_fp_ieee_overflow 0
		.amdhsa_exception_fp_ieee_underflow 0
		.amdhsa_exception_fp_ieee_inexact 0
		.amdhsa_exception_int_div_zero 0
	.end_amdhsa_kernel
	.section	.text._Z16warp_load_kernelILj256ELj16ELj64ELN6hipcub17WarpLoadAlgorithmE2EdEvPT3_S3_,"axG",@progbits,_Z16warp_load_kernelILj256ELj16ELj64ELN6hipcub17WarpLoadAlgorithmE2EdEvPT3_S3_,comdat
.Lfunc_end66:
	.size	_Z16warp_load_kernelILj256ELj16ELj64ELN6hipcub17WarpLoadAlgorithmE2EdEvPT3_S3_, .Lfunc_end66-_Z16warp_load_kernelILj256ELj16ELj64ELN6hipcub17WarpLoadAlgorithmE2EdEvPT3_S3_
                                        ; -- End function
	.set _Z16warp_load_kernelILj256ELj16ELj64ELN6hipcub17WarpLoadAlgorithmE2EdEvPT3_S3_.num_vgpr, 39
	.set _Z16warp_load_kernelILj256ELj16ELj64ELN6hipcub17WarpLoadAlgorithmE2EdEvPT3_S3_.num_agpr, 0
	.set _Z16warp_load_kernelILj256ELj16ELj64ELN6hipcub17WarpLoadAlgorithmE2EdEvPT3_S3_.numbered_sgpr, 7
	.set _Z16warp_load_kernelILj256ELj16ELj64ELN6hipcub17WarpLoadAlgorithmE2EdEvPT3_S3_.num_named_barrier, 0
	.set _Z16warp_load_kernelILj256ELj16ELj64ELN6hipcub17WarpLoadAlgorithmE2EdEvPT3_S3_.private_seg_size, 0
	.set _Z16warp_load_kernelILj256ELj16ELj64ELN6hipcub17WarpLoadAlgorithmE2EdEvPT3_S3_.uses_vcc, 1
	.set _Z16warp_load_kernelILj256ELj16ELj64ELN6hipcub17WarpLoadAlgorithmE2EdEvPT3_S3_.uses_flat_scratch, 0
	.set _Z16warp_load_kernelILj256ELj16ELj64ELN6hipcub17WarpLoadAlgorithmE2EdEvPT3_S3_.has_dyn_sized_stack, 0
	.set _Z16warp_load_kernelILj256ELj16ELj64ELN6hipcub17WarpLoadAlgorithmE2EdEvPT3_S3_.has_recursion, 0
	.set _Z16warp_load_kernelILj256ELj16ELj64ELN6hipcub17WarpLoadAlgorithmE2EdEvPT3_S3_.has_indirect_call, 0
	.section	.AMDGPU.csdata,"",@progbits
; Kernel info:
; codeLenInByte = 752
; TotalNumSgprs: 11
; NumVgprs: 39
; ScratchSize: 0
; MemoryBound: 1
; FloatMode: 240
; IeeeMode: 1
; LDSByteSize: 0 bytes/workgroup (compile time only)
; SGPRBlocks: 1
; VGPRBlocks: 9
; NumSGPRsForWavesPerEU: 11
; NumVGPRsForWavesPerEU: 39
; Occupancy: 6
; WaveLimiterHint : 1
; COMPUTE_PGM_RSRC2:SCRATCH_EN: 0
; COMPUTE_PGM_RSRC2:USER_SGPR: 6
; COMPUTE_PGM_RSRC2:TRAP_HANDLER: 0
; COMPUTE_PGM_RSRC2:TGID_X_EN: 1
; COMPUTE_PGM_RSRC2:TGID_Y_EN: 0
; COMPUTE_PGM_RSRC2:TGID_Z_EN: 0
; COMPUTE_PGM_RSRC2:TIDIG_COMP_CNT: 0
	.section	.text._Z16warp_load_kernelILj256ELj32ELj64ELN6hipcub17WarpLoadAlgorithmE0EdEvPT3_S3_,"axG",@progbits,_Z16warp_load_kernelILj256ELj32ELj64ELN6hipcub17WarpLoadAlgorithmE0EdEvPT3_S3_,comdat
	.protected	_Z16warp_load_kernelILj256ELj32ELj64ELN6hipcub17WarpLoadAlgorithmE0EdEvPT3_S3_ ; -- Begin function _Z16warp_load_kernelILj256ELj32ELj64ELN6hipcub17WarpLoadAlgorithmE0EdEvPT3_S3_
	.globl	_Z16warp_load_kernelILj256ELj32ELj64ELN6hipcub17WarpLoadAlgorithmE0EdEvPT3_S3_
	.p2align	8
	.type	_Z16warp_load_kernelILj256ELj32ELj64ELN6hipcub17WarpLoadAlgorithmE0EdEvPT3_S3_,@function
_Z16warp_load_kernelILj256ELj32ELj64ELN6hipcub17WarpLoadAlgorithmE0EdEvPT3_S3_: ; @_Z16warp_load_kernelILj256ELj32ELj64ELN6hipcub17WarpLoadAlgorithmE0EdEvPT3_S3_
; %bb.0:
	v_mbcnt_lo_u32_b32 v1, -1, 0
	s_load_dwordx4 s[0:3], s[4:5], 0x0
	v_mbcnt_hi_u32_b32 v3, -1, v1
	v_lshlrev_b32_e32 v1, 5, v0
	s_lshl_b32 s4, s6, 13
	v_and_b32_e32 v1, 0x1800, v1
	v_or_b32_e32 v65, s4, v1
	v_mov_b32_e32 v66, 0
	v_lshlrev_b64 v[1:2], 3, v[65:66]
	s_waitcnt lgkmcnt(0)
	v_mov_b32_e32 v4, s1
	v_add_co_u32_e32 v1, vcc, s0, v1
	v_addc_co_u32_e32 v2, vcc, v4, v2, vcc
	v_lshlrev_b32_e32 v3, 8, v3
	v_add_co_u32_e32 v67, vcc, v1, v3
	v_addc_co_u32_e32 v68, vcc, 0, v2, vcc
	global_load_dwordx4 v[1:4], v[67:68], off
	global_load_dwordx4 v[5:8], v[67:68], off offset:16
	global_load_dwordx4 v[9:12], v[67:68], off offset:32
	;; [unrolled: 1-line block ×5, first 2 shown]
	v_or_b32_e32 v65, s4, v0
	v_lshlrev_b64 v[35:36], 3, v[65:66]
	v_mov_b32_e32 v26, v66
	v_or_b32_e32 v25, 0x200, v65
	v_mov_b32_e32 v0, s3
	v_lshlrev_b64 v[25:26], 3, v[25:26]
	v_add_co_u32_e32 v71, vcc, s2, v35
	v_mov_b32_e32 v28, v66
	v_or_b32_e32 v27, 0x300, v65
	v_addc_co_u32_e32 v72, vcc, v0, v36, vcc
	v_mov_b32_e32 v37, s3
	v_lshlrev_b64 v[27:28], 3, v[27:28]
	v_add_co_u32_e32 v73, vcc, s2, v25
	v_mov_b32_e32 v30, v66
	v_or_b32_e32 v29, 0x400, v65
	v_addc_co_u32_e32 v74, vcc, v37, v26, vcc
	v_mov_b32_e32 v38, s3
	v_lshlrev_b64 v[29:30], 3, v[29:30]
	v_add_co_u32_e32 v75, vcc, s2, v27
	v_mov_b32_e32 v32, v66
	v_or_b32_e32 v31, 0x500, v65
	v_addc_co_u32_e32 v76, vcc, v38, v28, vcc
	v_mov_b32_e32 v39, s3
	v_lshlrev_b64 v[31:32], 3, v[31:32]
	v_add_co_u32_e32 v77, vcc, s2, v29
	v_addc_co_u32_e32 v78, vcc, v39, v30, vcc
	v_mov_b32_e32 v34, v66
	v_or_b32_e32 v33, 0x600, v65
	v_mov_b32_e32 v40, s3
	v_add_co_u32_e32 v79, vcc, s2, v31
	v_lshlrev_b64 v[69:70], 3, v[33:34]
	v_addc_co_u32_e32 v80, vcc, v40, v32, vcc
	global_load_dwordx4 v[25:28], v[67:68], off offset:112
	global_load_dwordx4 v[29:32], v[67:68], off offset:96
	;; [unrolled: 1-line block ×10, first 2 shown]
	v_mov_b32_e32 v81, s3
	v_add_co_u32_e32 v0, vcc, s2, v69
	s_waitcnt vmcnt(15)
	global_store_dwordx2 v[71:72], v[1:2], off
	global_store_dwordx2 v[71:72], v[3:4], off offset:2048
	s_waitcnt vmcnt(16)
	global_store_dwordx2 v[73:74], v[5:6], off
	global_store_dwordx2 v[75:76], v[7:8], off
	s_waitcnt vmcnt(17)
	global_store_dwordx2 v[77:78], v[9:10], off
	global_store_dwordx2 v[79:80], v[11:12], off
	v_or_b32_e32 v2, 0x700, v65
	v_mov_b32_e32 v3, v66
	v_lshlrev_b64 v[2:3], 3, v[2:3]
	v_addc_co_u32_e32 v1, vcc, v81, v70, vcc
	v_mov_b32_e32 v4, s3
	v_add_co_u32_e32 v2, vcc, s2, v2
	v_addc_co_u32_e32 v3, vcc, v4, v3, vcc
	s_waitcnt vmcnt(18)
	global_store_dwordx2 v[0:1], v[13:14], off
	global_store_dwordx2 v[2:3], v[15:16], off
	v_or_b32_e32 v0, 0x800, v65
	v_mov_b32_e32 v1, v66
	v_lshlrev_b64 v[0:1], 3, v[0:1]
	v_mov_b32_e32 v2, s3
	v_add_co_u32_e32 v0, vcc, s2, v0
	v_addc_co_u32_e32 v1, vcc, v2, v1, vcc
	v_or_b32_e32 v2, 0x900, v65
	v_mov_b32_e32 v3, v66
	v_lshlrev_b64 v[2:3], 3, v[2:3]
	v_add_co_u32_e32 v2, vcc, s2, v2
	v_addc_co_u32_e32 v3, vcc, v4, v3, vcc
	s_waitcnt vmcnt(18)
	global_store_dwordx2 v[0:1], v[21:22], off
	global_store_dwordx2 v[2:3], v[23:24], off
	v_or_b32_e32 v0, 0xa00, v65
	v_mov_b32_e32 v1, v66
	v_lshlrev_b64 v[0:1], 3, v[0:1]
	v_mov_b32_e32 v2, s3
	v_add_co_u32_e32 v0, vcc, s2, v0
	v_addc_co_u32_e32 v1, vcc, v2, v1, vcc
	v_or_b32_e32 v2, 0xb00, v65
	v_mov_b32_e32 v3, v66
	v_lshlrev_b64 v[2:3], 3, v[2:3]
	v_add_co_u32_e32 v2, vcc, s2, v2
	v_addc_co_u32_e32 v3, vcc, v4, v3, vcc
	global_store_dwordx2 v[0:1], v[17:18], off
	global_store_dwordx2 v[2:3], v[19:20], off
	v_or_b32_e32 v0, 0xc00, v65
	v_mov_b32_e32 v1, v66
	v_lshlrev_b64 v[0:1], 3, v[0:1]
	v_mov_b32_e32 v2, s3
	v_add_co_u32_e32 v0, vcc, s2, v0
	v_addc_co_u32_e32 v1, vcc, v2, v1, vcc
	v_or_b32_e32 v2, 0xd00, v65
	v_mov_b32_e32 v3, v66
	v_lshlrev_b64 v[2:3], 3, v[2:3]
	v_add_co_u32_e32 v2, vcc, s2, v2
	v_addc_co_u32_e32 v3, vcc, v4, v3, vcc
	s_waitcnt vmcnt(20)
	global_store_dwordx2 v[0:1], v[29:30], off
	global_store_dwordx2 v[2:3], v[31:32], off
	v_or_b32_e32 v0, 0xe00, v65
	v_mov_b32_e32 v1, v66
	v_lshlrev_b64 v[0:1], 3, v[0:1]
	v_mov_b32_e32 v2, s3
	v_add_co_u32_e32 v0, vcc, s2, v0
	v_addc_co_u32_e32 v1, vcc, v2, v1, vcc
	v_or_b32_e32 v2, 0xf00, v65
	v_mov_b32_e32 v3, v66
	v_lshlrev_b64 v[2:3], 3, v[2:3]
	v_add_co_u32_e32 v2, vcc, s2, v2
	v_addc_co_u32_e32 v3, vcc, v4, v3, vcc
	;; [unrolled: 27-line block ×3, first 2 shown]
	global_store_dwordx2 v[0:1], v[41:42], off
	global_store_dwordx2 v[2:3], v[43:44], off
	v_or_b32_e32 v0, 0x1400, v65
	v_mov_b32_e32 v1, v66
	v_lshlrev_b64 v[0:1], 3, v[0:1]
	v_mov_b32_e32 v2, s3
	v_add_co_u32_e32 v0, vcc, s2, v0
	v_addc_co_u32_e32 v1, vcc, v2, v1, vcc
	v_or_b32_e32 v2, 0x1500, v65
	v_mov_b32_e32 v3, v66
	v_lshlrev_b64 v[2:3], 3, v[2:3]
	v_add_co_u32_e32 v2, vcc, s2, v2
	v_addc_co_u32_e32 v3, vcc, v4, v3, vcc
	global_store_dwordx2 v[0:1], v[37:38], off
	global_store_dwordx2 v[2:3], v[39:40], off
	v_or_b32_e32 v0, 0x1600, v65
	v_mov_b32_e32 v1, v66
	v_lshlrev_b64 v[0:1], 3, v[0:1]
	v_mov_b32_e32 v2, s3
	v_add_co_u32_e32 v0, vcc, s2, v0
	v_addc_co_u32_e32 v1, vcc, v2, v1, vcc
	v_or_b32_e32 v2, 0x1700, v65
	v_mov_b32_e32 v3, v66
	v_lshlrev_b64 v[2:3], 3, v[2:3]
	v_add_co_u32_e32 v2, vcc, s2, v2
	v_addc_co_u32_e32 v3, vcc, v4, v3, vcc
	;; [unrolled: 13-line block ×3, first 2 shown]
	s_waitcnt vmcnt(24)
	global_store_dwordx2 v[0:1], v[61:62], off
	global_store_dwordx2 v[2:3], v[63:64], off
	v_or_b32_e32 v0, 0x1a00, v65
	v_mov_b32_e32 v1, v66
	v_lshlrev_b64 v[0:1], 3, v[0:1]
	v_mov_b32_e32 v2, s3
	v_add_co_u32_e32 v0, vcc, s2, v0
	v_addc_co_u32_e32 v1, vcc, v2, v1, vcc
	global_store_dwordx2 v[0:1], v[57:58], off
	v_or_b32_e32 v0, 0x1b00, v65
	v_mov_b32_e32 v1, v66
	v_lshlrev_b64 v[0:1], 3, v[0:1]
	v_add_co_u32_e32 v0, vcc, s2, v0
	v_addc_co_u32_e32 v1, vcc, v2, v1, vcc
	global_store_dwordx2 v[0:1], v[59:60], off
	v_or_b32_e32 v0, 0x1c00, v65
	v_mov_b32_e32 v1, v66
	v_lshlrev_b64 v[0:1], 3, v[0:1]
	v_add_co_u32_e32 v0, vcc, s2, v0
	v_addc_co_u32_e32 v1, vcc, v2, v1, vcc
	global_store_dwordx2 v[0:1], v[53:54], off
	v_or_b32_e32 v0, 0x1d00, v65
	v_mov_b32_e32 v1, v66
	v_lshlrev_b64 v[0:1], 3, v[0:1]
	v_add_co_u32_e32 v0, vcc, s2, v0
	v_addc_co_u32_e32 v1, vcc, v2, v1, vcc
	global_store_dwordx2 v[0:1], v[55:56], off
	v_or_b32_e32 v0, 0x1e00, v65
	v_mov_b32_e32 v1, v66
	v_lshlrev_b64 v[0:1], 3, v[0:1]
	v_or_b32_e32 v65, 0x1f00, v65
	v_add_co_u32_e32 v0, vcc, s2, v0
	v_addc_co_u32_e32 v1, vcc, v2, v1, vcc
	global_store_dwordx2 v[0:1], v[49:50], off
	v_lshlrev_b64 v[0:1], 3, v[65:66]
	v_add_co_u32_e32 v0, vcc, s2, v0
	v_addc_co_u32_e32 v1, vcc, v2, v1, vcc
	global_store_dwordx2 v[0:1], v[51:52], off
	s_endpgm
	.section	.rodata,"a",@progbits
	.p2align	6, 0x0
	.amdhsa_kernel _Z16warp_load_kernelILj256ELj32ELj64ELN6hipcub17WarpLoadAlgorithmE0EdEvPT3_S3_
		.amdhsa_group_segment_fixed_size 0
		.amdhsa_private_segment_fixed_size 0
		.amdhsa_kernarg_size 16
		.amdhsa_user_sgpr_count 6
		.amdhsa_user_sgpr_private_segment_buffer 1
		.amdhsa_user_sgpr_dispatch_ptr 0
		.amdhsa_user_sgpr_queue_ptr 0
		.amdhsa_user_sgpr_kernarg_segment_ptr 1
		.amdhsa_user_sgpr_dispatch_id 0
		.amdhsa_user_sgpr_flat_scratch_init 0
		.amdhsa_user_sgpr_private_segment_size 0
		.amdhsa_uses_dynamic_stack 0
		.amdhsa_system_sgpr_private_segment_wavefront_offset 0
		.amdhsa_system_sgpr_workgroup_id_x 1
		.amdhsa_system_sgpr_workgroup_id_y 0
		.amdhsa_system_sgpr_workgroup_id_z 0
		.amdhsa_system_sgpr_workgroup_info 0
		.amdhsa_system_vgpr_workitem_id 0
		.amdhsa_next_free_vgpr 82
		.amdhsa_next_free_sgpr 7
		.amdhsa_reserve_vcc 1
		.amdhsa_reserve_flat_scratch 0
		.amdhsa_float_round_mode_32 0
		.amdhsa_float_round_mode_16_64 0
		.amdhsa_float_denorm_mode_32 3
		.amdhsa_float_denorm_mode_16_64 3
		.amdhsa_dx10_clamp 1
		.amdhsa_ieee_mode 1
		.amdhsa_fp16_overflow 0
		.amdhsa_exception_fp_ieee_invalid_op 0
		.amdhsa_exception_fp_denorm_src 0
		.amdhsa_exception_fp_ieee_div_zero 0
		.amdhsa_exception_fp_ieee_overflow 0
		.amdhsa_exception_fp_ieee_underflow 0
		.amdhsa_exception_fp_ieee_inexact 0
		.amdhsa_exception_int_div_zero 0
	.end_amdhsa_kernel
	.section	.text._Z16warp_load_kernelILj256ELj32ELj64ELN6hipcub17WarpLoadAlgorithmE0EdEvPT3_S3_,"axG",@progbits,_Z16warp_load_kernelILj256ELj32ELj64ELN6hipcub17WarpLoadAlgorithmE0EdEvPT3_S3_,comdat
.Lfunc_end67:
	.size	_Z16warp_load_kernelILj256ELj32ELj64ELN6hipcub17WarpLoadAlgorithmE0EdEvPT3_S3_, .Lfunc_end67-_Z16warp_load_kernelILj256ELj32ELj64ELN6hipcub17WarpLoadAlgorithmE0EdEvPT3_S3_
                                        ; -- End function
	.set _Z16warp_load_kernelILj256ELj32ELj64ELN6hipcub17WarpLoadAlgorithmE0EdEvPT3_S3_.num_vgpr, 82
	.set _Z16warp_load_kernelILj256ELj32ELj64ELN6hipcub17WarpLoadAlgorithmE0EdEvPT3_S3_.num_agpr, 0
	.set _Z16warp_load_kernelILj256ELj32ELj64ELN6hipcub17WarpLoadAlgorithmE0EdEvPT3_S3_.numbered_sgpr, 7
	.set _Z16warp_load_kernelILj256ELj32ELj64ELN6hipcub17WarpLoadAlgorithmE0EdEvPT3_S3_.num_named_barrier, 0
	.set _Z16warp_load_kernelILj256ELj32ELj64ELN6hipcub17WarpLoadAlgorithmE0EdEvPT3_S3_.private_seg_size, 0
	.set _Z16warp_load_kernelILj256ELj32ELj64ELN6hipcub17WarpLoadAlgorithmE0EdEvPT3_S3_.uses_vcc, 1
	.set _Z16warp_load_kernelILj256ELj32ELj64ELN6hipcub17WarpLoadAlgorithmE0EdEvPT3_S3_.uses_flat_scratch, 0
	.set _Z16warp_load_kernelILj256ELj32ELj64ELN6hipcub17WarpLoadAlgorithmE0EdEvPT3_S3_.has_dyn_sized_stack, 0
	.set _Z16warp_load_kernelILj256ELj32ELj64ELN6hipcub17WarpLoadAlgorithmE0EdEvPT3_S3_.has_recursion, 0
	.set _Z16warp_load_kernelILj256ELj32ELj64ELN6hipcub17WarpLoadAlgorithmE0EdEvPT3_S3_.has_indirect_call, 0
	.section	.AMDGPU.csdata,"",@progbits
; Kernel info:
; codeLenInByte = 1428
; TotalNumSgprs: 11
; NumVgprs: 82
; ScratchSize: 0
; MemoryBound: 1
; FloatMode: 240
; IeeeMode: 1
; LDSByteSize: 0 bytes/workgroup (compile time only)
; SGPRBlocks: 1
; VGPRBlocks: 20
; NumSGPRsForWavesPerEU: 11
; NumVGPRsForWavesPerEU: 82
; Occupancy: 3
; WaveLimiterHint : 1
; COMPUTE_PGM_RSRC2:SCRATCH_EN: 0
; COMPUTE_PGM_RSRC2:USER_SGPR: 6
; COMPUTE_PGM_RSRC2:TRAP_HANDLER: 0
; COMPUTE_PGM_RSRC2:TGID_X_EN: 1
; COMPUTE_PGM_RSRC2:TGID_Y_EN: 0
; COMPUTE_PGM_RSRC2:TGID_Z_EN: 0
; COMPUTE_PGM_RSRC2:TIDIG_COMP_CNT: 0
	.section	.text._Z16warp_load_kernelILj256ELj32ELj64ELN6hipcub17WarpLoadAlgorithmE1EdEvPT3_S3_,"axG",@progbits,_Z16warp_load_kernelILj256ELj32ELj64ELN6hipcub17WarpLoadAlgorithmE1EdEvPT3_S3_,comdat
	.protected	_Z16warp_load_kernelILj256ELj32ELj64ELN6hipcub17WarpLoadAlgorithmE1EdEvPT3_S3_ ; -- Begin function _Z16warp_load_kernelILj256ELj32ELj64ELN6hipcub17WarpLoadAlgorithmE1EdEvPT3_S3_
	.globl	_Z16warp_load_kernelILj256ELj32ELj64ELN6hipcub17WarpLoadAlgorithmE1EdEvPT3_S3_
	.p2align	8
	.type	_Z16warp_load_kernelILj256ELj32ELj64ELN6hipcub17WarpLoadAlgorithmE1EdEvPT3_S3_,@function
_Z16warp_load_kernelILj256ELj32ELj64ELN6hipcub17WarpLoadAlgorithmE1EdEvPT3_S3_: ; @_Z16warp_load_kernelILj256ELj32ELj64ELN6hipcub17WarpLoadAlgorithmE1EdEvPT3_S3_
; %bb.0:
	v_mbcnt_lo_u32_b32 v1, -1, 0
	s_load_dwordx4 s[0:3], s[4:5], 0x0
	v_mbcnt_hi_u32_b32 v5, -1, v1
	v_lshlrev_b32_e32 v1, 5, v0
	s_lshl_b32 s4, s6, 13
	v_and_b32_e32 v1, 0x1800, v1
	v_or_b32_e32 v1, s4, v1
	v_mov_b32_e32 v2, 0
	v_lshlrev_b64 v[3:4], 3, v[1:2]
	s_waitcnt lgkmcnt(0)
	v_mov_b32_e32 v1, s1
	v_add_co_u32_e32 v3, vcc, s0, v3
	v_addc_co_u32_e32 v1, vcc, v1, v4, vcc
	v_lshlrev_b32_e32 v4, 3, v5
	v_add_co_u32_e32 v3, vcc, v3, v4
	v_lshlrev_b32_e32 v4, 8, v5
	v_addc_co_u32_e32 v1, vcc, 0, v1, vcc
	v_and_b32_e32 v4, 0x4000, v4
	v_add_co_u32_e32 v3, vcc, v3, v4
	v_addc_co_u32_e32 v4, vcc, 0, v1, vcc
	global_load_dwordx2 v[5:6], v[3:4], off
	global_load_dwordx2 v[7:8], v[3:4], off offset:512
	global_load_dwordx2 v[9:10], v[3:4], off offset:1024
	;; [unrolled: 1-line block ×7, first 2 shown]
	v_or_b32_e32 v1, s4, v0
	v_lshlrev_b64 v[17:18], 3, v[1:2]
	v_mov_b32_e32 v0, s3
	v_add_co_u32_e32 v17, vcc, s2, v17
	s_movk_i32 s0, 0x1000
	v_addc_co_u32_e32 v18, vcc, v0, v18, vcc
	v_add_co_u32_e32 v23, vcc, s0, v3
	s_movk_i32 s1, 0x2000
	v_addc_co_u32_e32 v24, vcc, 0, v4, vcc
	;; [unrolled: 3-line block ×3, first 2 shown]
	v_add_co_u32_e32 v3, vcc, s5, v3
	v_addc_co_u32_e32 v4, vcc, 0, v4, vcc
	global_load_dwordx2 v[29:30], v[25:26], off offset:-4096
	global_load_dwordx2 v[31:32], v[25:26], off
	global_load_dwordx2 v[33:34], v[25:26], off offset:512
	global_load_dwordx2 v[35:36], v[25:26], off offset:1024
	;; [unrolled: 1-line block ×13, first 2 shown]
                                        ; kill: killed $vgpr25 killed $vgpr26
	global_load_dwordx2 v[25:26], v[23:24], off offset:3584
	global_load_dwordx2 v[59:60], v[3:4], off
	global_load_dwordx2 v[61:62], v[3:4], off offset:512
	global_load_dwordx2 v[63:64], v[3:4], off offset:1024
	;; [unrolled: 1-line block ×7, first 2 shown]
	v_mov_b32_e32 v16, v2
	v_or_b32_e32 v15, 0x200, v1
	v_lshlrev_b64 v[15:16], 3, v[15:16]
	v_mov_b32_e32 v75, s3
	v_add_co_u32_e32 v3, vcc, s2, v15
	v_addc_co_u32_e32 v4, vcc, v75, v16, vcc
	s_waitcnt vmcnt(31)
	global_store_dwordx2 v[17:18], v[5:6], off
	s_waitcnt vmcnt(31)
	global_store_dwordx2 v[17:18], v[7:8], off offset:2048
	s_waitcnt vmcnt(31)
	global_store_dwordx2 v[3:4], v[9:10], off
	v_or_b32_e32 v3, 0x300, v1
	v_mov_b32_e32 v4, v2
	v_lshlrev_b64 v[3:4], 3, v[3:4]
	v_add_co_u32_e32 v3, vcc, s2, v3
	v_addc_co_u32_e32 v4, vcc, v0, v4, vcc
	s_waitcnt vmcnt(31)
	global_store_dwordx2 v[3:4], v[11:12], off
	v_or_b32_e32 v3, 0x400, v1
	v_mov_b32_e32 v4, v2
	v_lshlrev_b64 v[3:4], 3, v[3:4]
	v_add_co_u32_e32 v3, vcc, s2, v3
	v_addc_co_u32_e32 v4, vcc, v0, v4, vcc
	;; [unrolled: 7-line block ×14, first 2 shown]
	global_store_dwordx2 v[3:4], v[31:32], off
	v_or_b32_e32 v3, 0x1100, v1
	v_mov_b32_e32 v4, v2
	v_lshlrev_b64 v[3:4], 3, v[3:4]
	v_add_co_u32_e32 v3, vcc, s2, v3
	v_addc_co_u32_e32 v4, vcc, v0, v4, vcc
	global_store_dwordx2 v[3:4], v[33:34], off
	v_or_b32_e32 v3, 0x1200, v1
	v_mov_b32_e32 v4, v2
	v_lshlrev_b64 v[3:4], 3, v[3:4]
	v_add_co_u32_e32 v3, vcc, s2, v3
	v_addc_co_u32_e32 v4, vcc, v0, v4, vcc
	;; [unrolled: 6-line block ×8, first 2 shown]
	s_waitcnt vmcnt(31)
	global_store_dwordx2 v[3:4], v[59:60], off
	v_or_b32_e32 v3, 0x1900, v1
	v_mov_b32_e32 v4, v2
	v_lshlrev_b64 v[3:4], 3, v[3:4]
	v_add_co_u32_e32 v3, vcc, s2, v3
	v_addc_co_u32_e32 v4, vcc, v0, v4, vcc
	s_waitcnt vmcnt(31)
	global_store_dwordx2 v[3:4], v[61:62], off
	v_or_b32_e32 v3, 0x1a00, v1
	v_mov_b32_e32 v4, v2
	v_lshlrev_b64 v[3:4], 3, v[3:4]
	v_add_co_u32_e32 v3, vcc, s2, v3
	v_addc_co_u32_e32 v4, vcc, v0, v4, vcc
	;; [unrolled: 7-line block ×5, first 2 shown]
	s_waitcnt vmcnt(31)
	global_store_dwordx2 v[3:4], v[69:70], off
	v_or_b32_e32 v3, 0x1e00, v1
	v_mov_b32_e32 v4, v2
	v_lshlrev_b64 v[3:4], 3, v[3:4]
	v_or_b32_e32 v1, 0x1f00, v1
	v_add_co_u32_e32 v3, vcc, s2, v3
	v_addc_co_u32_e32 v4, vcc, v0, v4, vcc
	v_lshlrev_b64 v[0:1], 3, v[1:2]
	v_mov_b32_e32 v2, s3
	v_add_co_u32_e32 v0, vcc, s2, v0
	v_addc_co_u32_e32 v1, vcc, v2, v1, vcc
	s_waitcnt vmcnt(31)
	global_store_dwordx2 v[3:4], v[71:72], off
	s_waitcnt vmcnt(31)
	global_store_dwordx2 v[0:1], v[73:74], off
	s_endpgm
	.section	.rodata,"a",@progbits
	.p2align	6, 0x0
	.amdhsa_kernel _Z16warp_load_kernelILj256ELj32ELj64ELN6hipcub17WarpLoadAlgorithmE1EdEvPT3_S3_
		.amdhsa_group_segment_fixed_size 0
		.amdhsa_private_segment_fixed_size 0
		.amdhsa_kernarg_size 16
		.amdhsa_user_sgpr_count 6
		.amdhsa_user_sgpr_private_segment_buffer 1
		.amdhsa_user_sgpr_dispatch_ptr 0
		.amdhsa_user_sgpr_queue_ptr 0
		.amdhsa_user_sgpr_kernarg_segment_ptr 1
		.amdhsa_user_sgpr_dispatch_id 0
		.amdhsa_user_sgpr_flat_scratch_init 0
		.amdhsa_user_sgpr_private_segment_size 0
		.amdhsa_uses_dynamic_stack 0
		.amdhsa_system_sgpr_private_segment_wavefront_offset 0
		.amdhsa_system_sgpr_workgroup_id_x 1
		.amdhsa_system_sgpr_workgroup_id_y 0
		.amdhsa_system_sgpr_workgroup_id_z 0
		.amdhsa_system_sgpr_workgroup_info 0
		.amdhsa_system_vgpr_workitem_id 0
		.amdhsa_next_free_vgpr 76
		.amdhsa_next_free_sgpr 7
		.amdhsa_reserve_vcc 1
		.amdhsa_reserve_flat_scratch 0
		.amdhsa_float_round_mode_32 0
		.amdhsa_float_round_mode_16_64 0
		.amdhsa_float_denorm_mode_32 3
		.amdhsa_float_denorm_mode_16_64 3
		.amdhsa_dx10_clamp 1
		.amdhsa_ieee_mode 1
		.amdhsa_fp16_overflow 0
		.amdhsa_exception_fp_ieee_invalid_op 0
		.amdhsa_exception_fp_denorm_src 0
		.amdhsa_exception_fp_ieee_div_zero 0
		.amdhsa_exception_fp_ieee_overflow 0
		.amdhsa_exception_fp_ieee_underflow 0
		.amdhsa_exception_fp_ieee_inexact 0
		.amdhsa_exception_int_div_zero 0
	.end_amdhsa_kernel
	.section	.text._Z16warp_load_kernelILj256ELj32ELj64ELN6hipcub17WarpLoadAlgorithmE1EdEvPT3_S3_,"axG",@progbits,_Z16warp_load_kernelILj256ELj32ELj64ELN6hipcub17WarpLoadAlgorithmE1EdEvPT3_S3_,comdat
.Lfunc_end68:
	.size	_Z16warp_load_kernelILj256ELj32ELj64ELN6hipcub17WarpLoadAlgorithmE1EdEvPT3_S3_, .Lfunc_end68-_Z16warp_load_kernelILj256ELj32ELj64ELN6hipcub17WarpLoadAlgorithmE1EdEvPT3_S3_
                                        ; -- End function
	.set _Z16warp_load_kernelILj256ELj32ELj64ELN6hipcub17WarpLoadAlgorithmE1EdEvPT3_S3_.num_vgpr, 76
	.set _Z16warp_load_kernelILj256ELj32ELj64ELN6hipcub17WarpLoadAlgorithmE1EdEvPT3_S3_.num_agpr, 0
	.set _Z16warp_load_kernelILj256ELj32ELj64ELN6hipcub17WarpLoadAlgorithmE1EdEvPT3_S3_.numbered_sgpr, 7
	.set _Z16warp_load_kernelILj256ELj32ELj64ELN6hipcub17WarpLoadAlgorithmE1EdEvPT3_S3_.num_named_barrier, 0
	.set _Z16warp_load_kernelILj256ELj32ELj64ELN6hipcub17WarpLoadAlgorithmE1EdEvPT3_S3_.private_seg_size, 0
	.set _Z16warp_load_kernelILj256ELj32ELj64ELN6hipcub17WarpLoadAlgorithmE1EdEvPT3_S3_.uses_vcc, 1
	.set _Z16warp_load_kernelILj256ELj32ELj64ELN6hipcub17WarpLoadAlgorithmE1EdEvPT3_S3_.uses_flat_scratch, 0
	.set _Z16warp_load_kernelILj256ELj32ELj64ELN6hipcub17WarpLoadAlgorithmE1EdEvPT3_S3_.has_dyn_sized_stack, 0
	.set _Z16warp_load_kernelILj256ELj32ELj64ELN6hipcub17WarpLoadAlgorithmE1EdEvPT3_S3_.has_recursion, 0
	.set _Z16warp_load_kernelILj256ELj32ELj64ELN6hipcub17WarpLoadAlgorithmE1EdEvPT3_S3_.has_indirect_call, 0
	.section	.AMDGPU.csdata,"",@progbits
; Kernel info:
; codeLenInByte = 1620
; TotalNumSgprs: 11
; NumVgprs: 76
; ScratchSize: 0
; MemoryBound: 1
; FloatMode: 240
; IeeeMode: 1
; LDSByteSize: 0 bytes/workgroup (compile time only)
; SGPRBlocks: 1
; VGPRBlocks: 18
; NumSGPRsForWavesPerEU: 11
; NumVGPRsForWavesPerEU: 76
; Occupancy: 3
; WaveLimiterHint : 1
; COMPUTE_PGM_RSRC2:SCRATCH_EN: 0
; COMPUTE_PGM_RSRC2:USER_SGPR: 6
; COMPUTE_PGM_RSRC2:TRAP_HANDLER: 0
; COMPUTE_PGM_RSRC2:TGID_X_EN: 1
; COMPUTE_PGM_RSRC2:TGID_Y_EN: 0
; COMPUTE_PGM_RSRC2:TGID_Z_EN: 0
; COMPUTE_PGM_RSRC2:TIDIG_COMP_CNT: 0
	.section	.text._Z16warp_load_kernelILj256ELj32ELj64ELN6hipcub17WarpLoadAlgorithmE2EdEvPT3_S3_,"axG",@progbits,_Z16warp_load_kernelILj256ELj32ELj64ELN6hipcub17WarpLoadAlgorithmE2EdEvPT3_S3_,comdat
	.protected	_Z16warp_load_kernelILj256ELj32ELj64ELN6hipcub17WarpLoadAlgorithmE2EdEvPT3_S3_ ; -- Begin function _Z16warp_load_kernelILj256ELj32ELj64ELN6hipcub17WarpLoadAlgorithmE2EdEvPT3_S3_
	.globl	_Z16warp_load_kernelILj256ELj32ELj64ELN6hipcub17WarpLoadAlgorithmE2EdEvPT3_S3_
	.p2align	8
	.type	_Z16warp_load_kernelILj256ELj32ELj64ELN6hipcub17WarpLoadAlgorithmE2EdEvPT3_S3_,@function
_Z16warp_load_kernelILj256ELj32ELj64ELN6hipcub17WarpLoadAlgorithmE2EdEvPT3_S3_: ; @_Z16warp_load_kernelILj256ELj32ELj64ELN6hipcub17WarpLoadAlgorithmE2EdEvPT3_S3_
; %bb.0:
	v_mbcnt_lo_u32_b32 v1, -1, 0
	s_load_dwordx4 s[0:3], s[4:5], 0x0
	v_mbcnt_hi_u32_b32 v3, -1, v1
	v_lshlrev_b32_e32 v1, 5, v0
	s_lshl_b32 s4, s6, 13
	v_and_b32_e32 v1, 0x1800, v1
	v_or_b32_e32 v65, s4, v1
	v_mov_b32_e32 v66, 0
	v_lshlrev_b64 v[1:2], 3, v[65:66]
	s_waitcnt lgkmcnt(0)
	v_mov_b32_e32 v4, s1
	v_add_co_u32_e32 v1, vcc, s0, v1
	v_addc_co_u32_e32 v2, vcc, v4, v2, vcc
	v_lshlrev_b32_e32 v3, 8, v3
	v_add_co_u32_e32 v67, vcc, v1, v3
	v_addc_co_u32_e32 v68, vcc, 0, v2, vcc
	global_load_dwordx4 v[1:4], v[67:68], off
	global_load_dwordx4 v[5:8], v[67:68], off offset:16
	global_load_dwordx4 v[9:12], v[67:68], off offset:32
	;; [unrolled: 1-line block ×5, first 2 shown]
	v_or_b32_e32 v65, s4, v0
	v_lshlrev_b64 v[35:36], 3, v[65:66]
	v_mov_b32_e32 v26, v66
	v_or_b32_e32 v25, 0x200, v65
	v_mov_b32_e32 v0, s3
	v_lshlrev_b64 v[25:26], 3, v[25:26]
	v_add_co_u32_e32 v71, vcc, s2, v35
	v_mov_b32_e32 v28, v66
	v_or_b32_e32 v27, 0x300, v65
	v_addc_co_u32_e32 v72, vcc, v0, v36, vcc
	v_mov_b32_e32 v37, s3
	v_lshlrev_b64 v[27:28], 3, v[27:28]
	v_add_co_u32_e32 v73, vcc, s2, v25
	v_mov_b32_e32 v30, v66
	v_or_b32_e32 v29, 0x400, v65
	v_addc_co_u32_e32 v74, vcc, v37, v26, vcc
	;; [unrolled: 6-line block ×3, first 2 shown]
	v_mov_b32_e32 v39, s3
	v_lshlrev_b64 v[31:32], 3, v[31:32]
	v_add_co_u32_e32 v77, vcc, s2, v29
	v_addc_co_u32_e32 v78, vcc, v39, v30, vcc
	v_mov_b32_e32 v34, v66
	v_or_b32_e32 v33, 0x600, v65
	v_mov_b32_e32 v40, s3
	v_add_co_u32_e32 v79, vcc, s2, v31
	v_lshlrev_b64 v[69:70], 3, v[33:34]
	v_addc_co_u32_e32 v80, vcc, v40, v32, vcc
	global_load_dwordx4 v[25:28], v[67:68], off offset:112
	global_load_dwordx4 v[29:32], v[67:68], off offset:96
	;; [unrolled: 1-line block ×10, first 2 shown]
	v_mov_b32_e32 v81, s3
	v_add_co_u32_e32 v0, vcc, s2, v69
	s_waitcnt vmcnt(15)
	global_store_dwordx2 v[71:72], v[1:2], off
	global_store_dwordx2 v[71:72], v[3:4], off offset:2048
	s_waitcnt vmcnt(16)
	global_store_dwordx2 v[73:74], v[5:6], off
	global_store_dwordx2 v[75:76], v[7:8], off
	s_waitcnt vmcnt(17)
	global_store_dwordx2 v[77:78], v[9:10], off
	global_store_dwordx2 v[79:80], v[11:12], off
	v_or_b32_e32 v2, 0x700, v65
	v_mov_b32_e32 v3, v66
	v_lshlrev_b64 v[2:3], 3, v[2:3]
	v_addc_co_u32_e32 v1, vcc, v81, v70, vcc
	v_mov_b32_e32 v4, s3
	v_add_co_u32_e32 v2, vcc, s2, v2
	v_addc_co_u32_e32 v3, vcc, v4, v3, vcc
	s_waitcnt vmcnt(18)
	global_store_dwordx2 v[0:1], v[13:14], off
	global_store_dwordx2 v[2:3], v[15:16], off
	v_or_b32_e32 v0, 0x800, v65
	v_mov_b32_e32 v1, v66
	v_lshlrev_b64 v[0:1], 3, v[0:1]
	v_mov_b32_e32 v2, s3
	v_add_co_u32_e32 v0, vcc, s2, v0
	v_addc_co_u32_e32 v1, vcc, v2, v1, vcc
	v_or_b32_e32 v2, 0x900, v65
	v_mov_b32_e32 v3, v66
	v_lshlrev_b64 v[2:3], 3, v[2:3]
	v_add_co_u32_e32 v2, vcc, s2, v2
	v_addc_co_u32_e32 v3, vcc, v4, v3, vcc
	s_waitcnt vmcnt(18)
	global_store_dwordx2 v[0:1], v[21:22], off
	global_store_dwordx2 v[2:3], v[23:24], off
	v_or_b32_e32 v0, 0xa00, v65
	v_mov_b32_e32 v1, v66
	v_lshlrev_b64 v[0:1], 3, v[0:1]
	v_mov_b32_e32 v2, s3
	v_add_co_u32_e32 v0, vcc, s2, v0
	v_addc_co_u32_e32 v1, vcc, v2, v1, vcc
	v_or_b32_e32 v2, 0xb00, v65
	v_mov_b32_e32 v3, v66
	v_lshlrev_b64 v[2:3], 3, v[2:3]
	v_add_co_u32_e32 v2, vcc, s2, v2
	v_addc_co_u32_e32 v3, vcc, v4, v3, vcc
	global_store_dwordx2 v[0:1], v[17:18], off
	global_store_dwordx2 v[2:3], v[19:20], off
	v_or_b32_e32 v0, 0xc00, v65
	v_mov_b32_e32 v1, v66
	v_lshlrev_b64 v[0:1], 3, v[0:1]
	v_mov_b32_e32 v2, s3
	v_add_co_u32_e32 v0, vcc, s2, v0
	v_addc_co_u32_e32 v1, vcc, v2, v1, vcc
	v_or_b32_e32 v2, 0xd00, v65
	v_mov_b32_e32 v3, v66
	v_lshlrev_b64 v[2:3], 3, v[2:3]
	v_add_co_u32_e32 v2, vcc, s2, v2
	v_addc_co_u32_e32 v3, vcc, v4, v3, vcc
	s_waitcnt vmcnt(20)
	global_store_dwordx2 v[0:1], v[29:30], off
	global_store_dwordx2 v[2:3], v[31:32], off
	v_or_b32_e32 v0, 0xe00, v65
	v_mov_b32_e32 v1, v66
	v_lshlrev_b64 v[0:1], 3, v[0:1]
	v_mov_b32_e32 v2, s3
	v_add_co_u32_e32 v0, vcc, s2, v0
	v_addc_co_u32_e32 v1, vcc, v2, v1, vcc
	v_or_b32_e32 v2, 0xf00, v65
	v_mov_b32_e32 v3, v66
	v_lshlrev_b64 v[2:3], 3, v[2:3]
	v_add_co_u32_e32 v2, vcc, s2, v2
	v_addc_co_u32_e32 v3, vcc, v4, v3, vcc
	;; [unrolled: 27-line block ×3, first 2 shown]
	global_store_dwordx2 v[0:1], v[41:42], off
	global_store_dwordx2 v[2:3], v[43:44], off
	v_or_b32_e32 v0, 0x1400, v65
	v_mov_b32_e32 v1, v66
	v_lshlrev_b64 v[0:1], 3, v[0:1]
	v_mov_b32_e32 v2, s3
	v_add_co_u32_e32 v0, vcc, s2, v0
	v_addc_co_u32_e32 v1, vcc, v2, v1, vcc
	v_or_b32_e32 v2, 0x1500, v65
	v_mov_b32_e32 v3, v66
	v_lshlrev_b64 v[2:3], 3, v[2:3]
	v_add_co_u32_e32 v2, vcc, s2, v2
	v_addc_co_u32_e32 v3, vcc, v4, v3, vcc
	global_store_dwordx2 v[0:1], v[37:38], off
	global_store_dwordx2 v[2:3], v[39:40], off
	v_or_b32_e32 v0, 0x1600, v65
	v_mov_b32_e32 v1, v66
	v_lshlrev_b64 v[0:1], 3, v[0:1]
	v_mov_b32_e32 v2, s3
	v_add_co_u32_e32 v0, vcc, s2, v0
	v_addc_co_u32_e32 v1, vcc, v2, v1, vcc
	v_or_b32_e32 v2, 0x1700, v65
	v_mov_b32_e32 v3, v66
	v_lshlrev_b64 v[2:3], 3, v[2:3]
	v_add_co_u32_e32 v2, vcc, s2, v2
	v_addc_co_u32_e32 v3, vcc, v4, v3, vcc
	;; [unrolled: 13-line block ×3, first 2 shown]
	s_waitcnt vmcnt(24)
	global_store_dwordx2 v[0:1], v[61:62], off
	global_store_dwordx2 v[2:3], v[63:64], off
	v_or_b32_e32 v0, 0x1a00, v65
	v_mov_b32_e32 v1, v66
	v_lshlrev_b64 v[0:1], 3, v[0:1]
	v_mov_b32_e32 v2, s3
	v_add_co_u32_e32 v0, vcc, s2, v0
	v_addc_co_u32_e32 v1, vcc, v2, v1, vcc
	global_store_dwordx2 v[0:1], v[57:58], off
	v_or_b32_e32 v0, 0x1b00, v65
	v_mov_b32_e32 v1, v66
	v_lshlrev_b64 v[0:1], 3, v[0:1]
	v_add_co_u32_e32 v0, vcc, s2, v0
	v_addc_co_u32_e32 v1, vcc, v2, v1, vcc
	global_store_dwordx2 v[0:1], v[59:60], off
	v_or_b32_e32 v0, 0x1c00, v65
	v_mov_b32_e32 v1, v66
	v_lshlrev_b64 v[0:1], 3, v[0:1]
	;; [unrolled: 6-line block ×4, first 2 shown]
	v_or_b32_e32 v65, 0x1f00, v65
	v_add_co_u32_e32 v0, vcc, s2, v0
	v_addc_co_u32_e32 v1, vcc, v2, v1, vcc
	global_store_dwordx2 v[0:1], v[49:50], off
	v_lshlrev_b64 v[0:1], 3, v[65:66]
	v_add_co_u32_e32 v0, vcc, s2, v0
	v_addc_co_u32_e32 v1, vcc, v2, v1, vcc
	global_store_dwordx2 v[0:1], v[51:52], off
	s_endpgm
	.section	.rodata,"a",@progbits
	.p2align	6, 0x0
	.amdhsa_kernel _Z16warp_load_kernelILj256ELj32ELj64ELN6hipcub17WarpLoadAlgorithmE2EdEvPT3_S3_
		.amdhsa_group_segment_fixed_size 0
		.amdhsa_private_segment_fixed_size 0
		.amdhsa_kernarg_size 16
		.amdhsa_user_sgpr_count 6
		.amdhsa_user_sgpr_private_segment_buffer 1
		.amdhsa_user_sgpr_dispatch_ptr 0
		.amdhsa_user_sgpr_queue_ptr 0
		.amdhsa_user_sgpr_kernarg_segment_ptr 1
		.amdhsa_user_sgpr_dispatch_id 0
		.amdhsa_user_sgpr_flat_scratch_init 0
		.amdhsa_user_sgpr_private_segment_size 0
		.amdhsa_uses_dynamic_stack 0
		.amdhsa_system_sgpr_private_segment_wavefront_offset 0
		.amdhsa_system_sgpr_workgroup_id_x 1
		.amdhsa_system_sgpr_workgroup_id_y 0
		.amdhsa_system_sgpr_workgroup_id_z 0
		.amdhsa_system_sgpr_workgroup_info 0
		.amdhsa_system_vgpr_workitem_id 0
		.amdhsa_next_free_vgpr 82
		.amdhsa_next_free_sgpr 7
		.amdhsa_reserve_vcc 1
		.amdhsa_reserve_flat_scratch 0
		.amdhsa_float_round_mode_32 0
		.amdhsa_float_round_mode_16_64 0
		.amdhsa_float_denorm_mode_32 3
		.amdhsa_float_denorm_mode_16_64 3
		.amdhsa_dx10_clamp 1
		.amdhsa_ieee_mode 1
		.amdhsa_fp16_overflow 0
		.amdhsa_exception_fp_ieee_invalid_op 0
		.amdhsa_exception_fp_denorm_src 0
		.amdhsa_exception_fp_ieee_div_zero 0
		.amdhsa_exception_fp_ieee_overflow 0
		.amdhsa_exception_fp_ieee_underflow 0
		.amdhsa_exception_fp_ieee_inexact 0
		.amdhsa_exception_int_div_zero 0
	.end_amdhsa_kernel
	.section	.text._Z16warp_load_kernelILj256ELj32ELj64ELN6hipcub17WarpLoadAlgorithmE2EdEvPT3_S3_,"axG",@progbits,_Z16warp_load_kernelILj256ELj32ELj64ELN6hipcub17WarpLoadAlgorithmE2EdEvPT3_S3_,comdat
.Lfunc_end69:
	.size	_Z16warp_load_kernelILj256ELj32ELj64ELN6hipcub17WarpLoadAlgorithmE2EdEvPT3_S3_, .Lfunc_end69-_Z16warp_load_kernelILj256ELj32ELj64ELN6hipcub17WarpLoadAlgorithmE2EdEvPT3_S3_
                                        ; -- End function
	.set _Z16warp_load_kernelILj256ELj32ELj64ELN6hipcub17WarpLoadAlgorithmE2EdEvPT3_S3_.num_vgpr, 82
	.set _Z16warp_load_kernelILj256ELj32ELj64ELN6hipcub17WarpLoadAlgorithmE2EdEvPT3_S3_.num_agpr, 0
	.set _Z16warp_load_kernelILj256ELj32ELj64ELN6hipcub17WarpLoadAlgorithmE2EdEvPT3_S3_.numbered_sgpr, 7
	.set _Z16warp_load_kernelILj256ELj32ELj64ELN6hipcub17WarpLoadAlgorithmE2EdEvPT3_S3_.num_named_barrier, 0
	.set _Z16warp_load_kernelILj256ELj32ELj64ELN6hipcub17WarpLoadAlgorithmE2EdEvPT3_S3_.private_seg_size, 0
	.set _Z16warp_load_kernelILj256ELj32ELj64ELN6hipcub17WarpLoadAlgorithmE2EdEvPT3_S3_.uses_vcc, 1
	.set _Z16warp_load_kernelILj256ELj32ELj64ELN6hipcub17WarpLoadAlgorithmE2EdEvPT3_S3_.uses_flat_scratch, 0
	.set _Z16warp_load_kernelILj256ELj32ELj64ELN6hipcub17WarpLoadAlgorithmE2EdEvPT3_S3_.has_dyn_sized_stack, 0
	.set _Z16warp_load_kernelILj256ELj32ELj64ELN6hipcub17WarpLoadAlgorithmE2EdEvPT3_S3_.has_recursion, 0
	.set _Z16warp_load_kernelILj256ELj32ELj64ELN6hipcub17WarpLoadAlgorithmE2EdEvPT3_S3_.has_indirect_call, 0
	.section	.AMDGPU.csdata,"",@progbits
; Kernel info:
; codeLenInByte = 1428
; TotalNumSgprs: 11
; NumVgprs: 82
; ScratchSize: 0
; MemoryBound: 1
; FloatMode: 240
; IeeeMode: 1
; LDSByteSize: 0 bytes/workgroup (compile time only)
; SGPRBlocks: 1
; VGPRBlocks: 20
; NumSGPRsForWavesPerEU: 11
; NumVGPRsForWavesPerEU: 82
; Occupancy: 3
; WaveLimiterHint : 1
; COMPUTE_PGM_RSRC2:SCRATCH_EN: 0
; COMPUTE_PGM_RSRC2:USER_SGPR: 6
; COMPUTE_PGM_RSRC2:TRAP_HANDLER: 0
; COMPUTE_PGM_RSRC2:TGID_X_EN: 1
; COMPUTE_PGM_RSRC2:TGID_Y_EN: 0
; COMPUTE_PGM_RSRC2:TGID_Z_EN: 0
; COMPUTE_PGM_RSRC2:TIDIG_COMP_CNT: 0
	.section	.text._Z16warp_load_kernelILj256ELj64ELj64ELN6hipcub17WarpLoadAlgorithmE0EdEvPT3_S3_,"axG",@progbits,_Z16warp_load_kernelILj256ELj64ELj64ELN6hipcub17WarpLoadAlgorithmE0EdEvPT3_S3_,comdat
	.protected	_Z16warp_load_kernelILj256ELj64ELj64ELN6hipcub17WarpLoadAlgorithmE0EdEvPT3_S3_ ; -- Begin function _Z16warp_load_kernelILj256ELj64ELj64ELN6hipcub17WarpLoadAlgorithmE0EdEvPT3_S3_
	.globl	_Z16warp_load_kernelILj256ELj64ELj64ELN6hipcub17WarpLoadAlgorithmE0EdEvPT3_S3_
	.p2align	8
	.type	_Z16warp_load_kernelILj256ELj64ELj64ELN6hipcub17WarpLoadAlgorithmE0EdEvPT3_S3_,@function
_Z16warp_load_kernelILj256ELj64ELj64ELN6hipcub17WarpLoadAlgorithmE0EdEvPT3_S3_: ; @_Z16warp_load_kernelILj256ELj64ELj64ELN6hipcub17WarpLoadAlgorithmE0EdEvPT3_S3_
; %bb.0:
	v_mbcnt_lo_u32_b32 v1, -1, 0
	s_load_dwordx4 s[0:3], s[4:5], 0x0
	v_mbcnt_hi_u32_b32 v3, -1, v1
	v_lshlrev_b32_e32 v1, 6, v0
	s_lshl_b32 s4, s6, 14
	v_and_b32_e32 v1, 0x3000, v1
	v_or_b32_e32 v36, s4, v1
	v_mov_b32_e32 v37, 0
	v_lshlrev_b64 v[1:2], 3, v[36:37]
	s_waitcnt lgkmcnt(0)
	v_mov_b32_e32 v4, s1
	v_add_co_u32_e32 v1, vcc, s0, v1
	v_addc_co_u32_e32 v2, vcc, v4, v2, vcc
	v_lshlrev_b32_e32 v3, 9, v3
	v_add_co_u32_e32 v12, vcc, v1, v3
	v_addc_co_u32_e32 v13, vcc, 0, v2, vcc
	global_load_dwordx4 v[38:41], v[12:13], off
	global_load_dwordx4 v[42:45], v[12:13], off offset:16
	global_load_dwordx4 v[46:49], v[12:13], off offset:32
	;; [unrolled: 1-line block ×5, first 2 shown]
	v_or_b32_e32 v36, s4, v0
	v_lshlrev_b64 v[6:7], 3, v[36:37]
	v_mov_b32_e32 v1, v37
	v_or_b32_e32 v0, 0x200, v36
	v_mov_b32_e32 v8, s3
	v_lshlrev_b64 v[0:1], 3, v[0:1]
	v_add_co_u32_e32 v131, vcc, s2, v6
	v_mov_b32_e32 v3, v37
	v_or_b32_e32 v2, 0x300, v36
	v_addc_co_u32_e32 v132, vcc, v8, v7, vcc
	v_mov_b32_e32 v9, s3
	v_lshlrev_b64 v[2:3], 3, v[2:3]
	v_add_co_u32_e32 v133, vcc, s2, v0
	v_mov_b32_e32 v5, v37
	v_or_b32_e32 v4, 0x400, v36
	v_addc_co_u32_e32 v134, vcc, v9, v1, vcc
	v_mov_b32_e32 v10, s3
	v_lshlrev_b64 v[4:5], 3, v[4:5]
	v_add_co_u32_e32 v135, vcc, s2, v2
	v_addc_co_u32_e32 v136, vcc, v10, v3, vcc
	v_mov_b32_e32 v11, s3
	v_add_co_u32_e32 v137, vcc, s2, v4
	v_addc_co_u32_e32 v138, vcc, v11, v5, vcc
	global_load_dwordx4 v[62:65], v[12:13], off offset:112
	global_load_dwordx4 v[66:69], v[12:13], off offset:96
	;; [unrolled: 1-line block ×25, first 2 shown]
	s_nop 0
	global_load_dwordx4 v[12:15], v[12:13], off offset:448
	v_or_b32_e32 v130, 0x500, v36
	s_waitcnt vmcnt(31)
	global_store_dwordx2 v[131:132], v[38:39], off
	global_store_dwordx2 v[131:132], v[40:41], off offset:2048
	s_waitcnt vmcnt(32)
	global_store_dwordx2 v[133:134], v[42:43], off
	global_store_dwordx2 v[135:136], v[44:45], off
	v_mov_b32_e32 v131, v37
	v_lshlrev_b64 v[38:39], 3, v[130:131]
	v_mov_b32_e32 v40, s3
	v_add_co_u32_e32 v38, vcc, s2, v38
	v_addc_co_u32_e32 v39, vcc, v40, v39, vcc
	s_waitcnt vmcnt(33)
	global_store_dwordx2 v[137:138], v[46:47], off
	global_store_dwordx2 v[38:39], v[48:49], off
	v_or_b32_e32 v38, 0x600, v36
	v_mov_b32_e32 v39, v37
	v_lshlrev_b64 v[38:39], 3, v[38:39]
	v_mov_b32_e32 v41, v37
	v_add_co_u32_e32 v38, vcc, s2, v38
	v_addc_co_u32_e32 v39, vcc, v40, v39, vcc
	v_or_b32_e32 v40, 0x700, v36
	v_lshlrev_b64 v[40:41], 3, v[40:41]
	v_mov_b32_e32 v42, s3
	v_add_co_u32_e32 v40, vcc, s2, v40
	v_addc_co_u32_e32 v41, vcc, v42, v41, vcc
	s_waitcnt vmcnt(34)
	global_store_dwordx2 v[38:39], v[50:51], off
	global_store_dwordx2 v[40:41], v[52:53], off
	v_or_b32_e32 v38, 0x800, v36
	v_mov_b32_e32 v39, v37
	v_lshlrev_b64 v[38:39], 3, v[38:39]
	v_mov_b32_e32 v40, s3
	v_add_co_u32_e32 v38, vcc, s2, v38
	v_addc_co_u32_e32 v39, vcc, v40, v39, vcc
	v_or_b32_e32 v40, 0x900, v36
	v_mov_b32_e32 v41, v37
	v_lshlrev_b64 v[40:41], 3, v[40:41]
	v_add_co_u32_e32 v40, vcc, s2, v40
	v_addc_co_u32_e32 v41, vcc, v42, v41, vcc
	s_waitcnt vmcnt(34)
	global_store_dwordx2 v[38:39], v[58:59], off
	global_store_dwordx2 v[40:41], v[60:61], off
	v_or_b32_e32 v38, 0xa00, v36
	v_mov_b32_e32 v39, v37
	v_lshlrev_b64 v[38:39], 3, v[38:39]
	v_mov_b32_e32 v40, s3
	v_add_co_u32_e32 v38, vcc, s2, v38
	v_addc_co_u32_e32 v39, vcc, v40, v39, vcc
	v_or_b32_e32 v40, 0xb00, v36
	v_mov_b32_e32 v41, v37
	v_lshlrev_b64 v[40:41], 3, v[40:41]
	v_add_co_u32_e32 v40, vcc, s2, v40
	v_addc_co_u32_e32 v41, vcc, v42, v41, vcc
	global_store_dwordx2 v[38:39], v[54:55], off
	global_store_dwordx2 v[40:41], v[56:57], off
	v_or_b32_e32 v38, 0xc00, v36
	v_mov_b32_e32 v39, v37
	v_lshlrev_b64 v[38:39], 3, v[38:39]
	v_mov_b32_e32 v40, s3
	v_add_co_u32_e32 v38, vcc, s2, v38
	v_addc_co_u32_e32 v39, vcc, v40, v39, vcc
	v_or_b32_e32 v40, 0xd00, v36
	v_mov_b32_e32 v41, v37
	v_lshlrev_b64 v[40:41], 3, v[40:41]
	v_add_co_u32_e32 v40, vcc, s2, v40
	v_addc_co_u32_e32 v41, vcc, v42, v41, vcc
	s_waitcnt vmcnt(36)
	global_store_dwordx2 v[38:39], v[66:67], off
	global_store_dwordx2 v[40:41], v[68:69], off
	v_or_b32_e32 v38, 0xe00, v36
	v_mov_b32_e32 v39, v37
	v_lshlrev_b64 v[38:39], 3, v[38:39]
	v_mov_b32_e32 v40, s3
	v_add_co_u32_e32 v38, vcc, s2, v38
	v_addc_co_u32_e32 v39, vcc, v40, v39, vcc
	v_or_b32_e32 v40, 0xf00, v36
	v_mov_b32_e32 v41, v37
	v_lshlrev_b64 v[40:41], 3, v[40:41]
	v_add_co_u32_e32 v40, vcc, s2, v40
	v_addc_co_u32_e32 v41, vcc, v42, v41, vcc
	;; [unrolled: 27-line block ×3, first 2 shown]
	global_store_dwordx2 v[38:39], v[78:79], off
	global_store_dwordx2 v[40:41], v[80:81], off
	v_or_b32_e32 v38, 0x1400, v36
	v_mov_b32_e32 v39, v37
	v_lshlrev_b64 v[38:39], 3, v[38:39]
	v_mov_b32_e32 v40, s3
	v_add_co_u32_e32 v38, vcc, s2, v38
	v_addc_co_u32_e32 v39, vcc, v40, v39, vcc
	v_or_b32_e32 v40, 0x1500, v36
	v_mov_b32_e32 v41, v37
	v_lshlrev_b64 v[40:41], 3, v[40:41]
	v_add_co_u32_e32 v40, vcc, s2, v40
	v_addc_co_u32_e32 v41, vcc, v42, v41, vcc
	global_store_dwordx2 v[38:39], v[74:75], off
	global_store_dwordx2 v[40:41], v[76:77], off
	v_or_b32_e32 v38, 0x1600, v36
	v_mov_b32_e32 v39, v37
	v_lshlrev_b64 v[38:39], 3, v[38:39]
	v_mov_b32_e32 v40, s3
	v_add_co_u32_e32 v38, vcc, s2, v38
	v_addc_co_u32_e32 v39, vcc, v40, v39, vcc
	v_or_b32_e32 v40, 0x1700, v36
	v_mov_b32_e32 v41, v37
	v_lshlrev_b64 v[40:41], 3, v[40:41]
	v_add_co_u32_e32 v40, vcc, s2, v40
	v_addc_co_u32_e32 v41, vcc, v42, v41, vcc
	global_store_dwordx2 v[38:39], v[70:71], off
	global_store_dwordx2 v[40:41], v[72:73], off
	v_or_b32_e32 v38, 0x1800, v36
	v_mov_b32_e32 v39, v37
	v_lshlrev_b64 v[38:39], 3, v[38:39]
	v_mov_b32_e32 v40, s3
	v_add_co_u32_e32 v38, vcc, s2, v38
	v_addc_co_u32_e32 v39, vcc, v40, v39, vcc
	v_or_b32_e32 v40, 0x1900, v36
	v_mov_b32_e32 v41, v37
	v_lshlrev_b64 v[40:41], 3, v[40:41]
	v_add_co_u32_e32 v40, vcc, s2, v40
	v_addc_co_u32_e32 v41, vcc, v42, v41, vcc
	s_waitcnt vmcnt(40)
	global_store_dwordx2 v[38:39], v[98:99], off
	global_store_dwordx2 v[40:41], v[100:101], off
	v_or_b32_e32 v38, 0x1a00, v36
	v_mov_b32_e32 v39, v37
	v_lshlrev_b64 v[38:39], 3, v[38:39]
	v_mov_b32_e32 v40, s3
	v_add_co_u32_e32 v38, vcc, s2, v38
	v_addc_co_u32_e32 v39, vcc, v40, v39, vcc
	v_or_b32_e32 v40, 0x1b00, v36
	v_mov_b32_e32 v41, v37
	v_lshlrev_b64 v[40:41], 3, v[40:41]
	v_add_co_u32_e32 v40, vcc, s2, v40
	v_addc_co_u32_e32 v41, vcc, v42, v41, vcc
	global_store_dwordx2 v[38:39], v[94:95], off
	global_store_dwordx2 v[40:41], v[96:97], off
	v_or_b32_e32 v38, 0x1c00, v36
	v_mov_b32_e32 v39, v37
	v_lshlrev_b64 v[38:39], 3, v[38:39]
	v_mov_b32_e32 v40, s3
	v_add_co_u32_e32 v38, vcc, s2, v38
	v_addc_co_u32_e32 v39, vcc, v40, v39, vcc
	v_or_b32_e32 v40, 0x1d00, v36
	v_mov_b32_e32 v41, v37
	v_lshlrev_b64 v[40:41], 3, v[40:41]
	v_add_co_u32_e32 v40, vcc, s2, v40
	v_addc_co_u32_e32 v41, vcc, v42, v41, vcc
	global_store_dwordx2 v[38:39], v[90:91], off
	global_store_dwordx2 v[40:41], v[92:93], off
	v_or_b32_e32 v38, 0x1e00, v36
	v_mov_b32_e32 v39, v37
	v_lshlrev_b64 v[38:39], 3, v[38:39]
	v_mov_b32_e32 v40, s3
	v_add_co_u32_e32 v38, vcc, s2, v38
	v_addc_co_u32_e32 v39, vcc, v40, v39, vcc
	v_or_b32_e32 v40, 0x1f00, v36
	v_mov_b32_e32 v41, v37
	v_lshlrev_b64 v[40:41], 3, v[40:41]
	v_add_co_u32_e32 v40, vcc, s2, v40
	v_addc_co_u32_e32 v41, vcc, v42, v41, vcc
	global_store_dwordx2 v[38:39], v[86:87], off
	global_store_dwordx2 v[40:41], v[88:89], off
	v_or_b32_e32 v38, 0x2000, v36
	v_mov_b32_e32 v39, v37
	v_lshlrev_b64 v[38:39], 3, v[38:39]
	v_mov_b32_e32 v40, s3
	v_add_co_u32_e32 v38, vcc, s2, v38
	v_addc_co_u32_e32 v39, vcc, v40, v39, vcc
	v_or_b32_e32 v40, 0x2100, v36
	v_mov_b32_e32 v41, v37
	v_lshlrev_b64 v[40:41], 3, v[40:41]
	v_add_co_u32_e32 v40, vcc, s2, v40
	v_addc_co_u32_e32 v41, vcc, v42, v41, vcc
	s_waitcnt vmcnt(44)
	global_store_dwordx2 v[38:39], v[114:115], off
	global_store_dwordx2 v[40:41], v[116:117], off
	v_or_b32_e32 v38, 0x2200, v36
	v_mov_b32_e32 v39, v37
	v_lshlrev_b64 v[38:39], 3, v[38:39]
	v_mov_b32_e32 v40, s3
	v_add_co_u32_e32 v38, vcc, s2, v38
	v_addc_co_u32_e32 v39, vcc, v40, v39, vcc
	v_or_b32_e32 v40, 0x2300, v36
	v_mov_b32_e32 v41, v37
	v_lshlrev_b64 v[40:41], 3, v[40:41]
	v_add_co_u32_e32 v40, vcc, s2, v40
	v_addc_co_u32_e32 v41, vcc, v42, v41, vcc
	;; [unrolled: 53-line block ×3, first 2 shown]
	global_store_dwordx2 v[38:39], v[122:123], off
	global_store_dwordx2 v[40:41], v[124:125], off
	v_or_b32_e32 v38, 0x2c00, v36
	v_mov_b32_e32 v39, v37
	v_lshlrev_b64 v[38:39], 3, v[38:39]
	v_mov_b32_e32 v40, s3
	v_add_co_u32_e32 v38, vcc, s2, v38
	v_addc_co_u32_e32 v39, vcc, v40, v39, vcc
	v_or_b32_e32 v40, 0x2d00, v36
	v_mov_b32_e32 v41, v37
	v_lshlrev_b64 v[40:41], 3, v[40:41]
	v_add_co_u32_e32 v40, vcc, s2, v40
	v_addc_co_u32_e32 v41, vcc, v42, v41, vcc
	global_store_dwordx2 v[38:39], v[118:119], off
	global_store_dwordx2 v[40:41], v[120:121], off
	v_or_b32_e32 v38, 0x2e00, v36
	v_mov_b32_e32 v39, v37
	v_lshlrev_b64 v[38:39], 3, v[38:39]
	v_mov_b32_e32 v40, s3
	v_add_co_u32_e32 v38, vcc, s2, v38
	v_addc_co_u32_e32 v39, vcc, v40, v39, vcc
	v_or_b32_e32 v40, 0x2f00, v36
	v_mov_b32_e32 v41, v37
	v_lshlrev_b64 v[40:41], 3, v[40:41]
	v_add_co_u32_e32 v40, vcc, s2, v40
	v_addc_co_u32_e32 v41, vcc, v42, v41, vcc
	global_store_dwordx2 v[38:39], v[32:33], off
	global_store_dwordx2 v[40:41], v[34:35], off
	v_or_b32_e32 v32, 0x3000, v36
	v_mov_b32_e32 v33, v37
	v_lshlrev_b64 v[32:33], 3, v[32:33]
	v_mov_b32_e32 v34, s3
	v_add_co_u32_e32 v32, vcc, s2, v32
	v_addc_co_u32_e32 v33, vcc, v34, v33, vcc
	v_or_b32_e32 v34, 0x3100, v36
	v_mov_b32_e32 v35, v37
	v_lshlrev_b64 v[34:35], 3, v[34:35]
	v_mov_b32_e32 v38, s3
	v_add_co_u32_e32 v34, vcc, s2, v34
	v_addc_co_u32_e32 v35, vcc, v38, v35, vcc
	s_waitcnt vmcnt(52)
	global_store_dwordx2 v[32:33], v[28:29], off
	global_store_dwordx2 v[34:35], v[30:31], off
	v_or_b32_e32 v28, 0x3200, v36
	v_mov_b32_e32 v29, v37
	v_lshlrev_b64 v[28:29], 3, v[28:29]
	v_mov_b32_e32 v30, s3
	v_add_co_u32_e32 v28, vcc, s2, v28
	v_addc_co_u32_e32 v29, vcc, v30, v29, vcc
	v_or_b32_e32 v30, 0x3300, v36
	v_mov_b32_e32 v31, v37
	v_lshlrev_b64 v[30:31], 3, v[30:31]
	v_mov_b32_e32 v32, s3
	v_add_co_u32_e32 v30, vcc, s2, v30
	v_addc_co_u32_e32 v31, vcc, v32, v31, vcc
	global_store_dwordx2 v[28:29], v[24:25], off
	global_store_dwordx2 v[30:31], v[26:27], off
	v_or_b32_e32 v24, 0x3400, v36
	v_mov_b32_e32 v25, v37
	v_lshlrev_b64 v[24:25], 3, v[24:25]
	v_mov_b32_e32 v26, s3
	v_add_co_u32_e32 v24, vcc, s2, v24
	v_addc_co_u32_e32 v25, vcc, v26, v25, vcc
	v_or_b32_e32 v26, 0x3500, v36
	v_mov_b32_e32 v27, v37
	v_lshlrev_b64 v[26:27], 3, v[26:27]
	v_mov_b32_e32 v28, s3
	v_add_co_u32_e32 v26, vcc, s2, v26
	v_addc_co_u32_e32 v27, vcc, v28, v27, vcc
	;; [unrolled: 14-line block ×4, first 2 shown]
	s_waitcnt vmcnt(56)
	global_store_dwordx2 v[16:17], v[12:13], off
	global_store_dwordx2 v[18:19], v[14:15], off
	v_or_b32_e32 v12, 0x3a00, v36
	v_mov_b32_e32 v13, v37
	v_lshlrev_b64 v[12:13], 3, v[12:13]
	v_mov_b32_e32 v14, s3
	v_add_co_u32_e32 v12, vcc, s2, v12
	v_addc_co_u32_e32 v13, vcc, v14, v13, vcc
	global_store_dwordx2 v[12:13], v[8:9], off
	v_or_b32_e32 v8, 0x3b00, v36
	v_mov_b32_e32 v9, v37
	v_lshlrev_b64 v[8:9], 3, v[8:9]
	v_mov_b32_e32 v12, s3
	v_add_co_u32_e32 v8, vcc, s2, v8
	v_addc_co_u32_e32 v9, vcc, v12, v9, vcc
	;; [unrolled: 7-line block ×5, first 2 shown]
	v_or_b32_e32 v36, 0x3f00, v36
	global_store_dwordx2 v[4:5], v[0:1], off
	v_lshlrev_b64 v[0:1], 3, v[36:37]
	v_mov_b32_e32 v4, s3
	v_add_co_u32_e32 v0, vcc, s2, v0
	v_addc_co_u32_e32 v1, vcc, v4, v1, vcc
	global_store_dwordx2 v[0:1], v[2:3], off
	s_endpgm
	.section	.rodata,"a",@progbits
	.p2align	6, 0x0
	.amdhsa_kernel _Z16warp_load_kernelILj256ELj64ELj64ELN6hipcub17WarpLoadAlgorithmE0EdEvPT3_S3_
		.amdhsa_group_segment_fixed_size 0
		.amdhsa_private_segment_fixed_size 0
		.amdhsa_kernarg_size 16
		.amdhsa_user_sgpr_count 6
		.amdhsa_user_sgpr_private_segment_buffer 1
		.amdhsa_user_sgpr_dispatch_ptr 0
		.amdhsa_user_sgpr_queue_ptr 0
		.amdhsa_user_sgpr_kernarg_segment_ptr 1
		.amdhsa_user_sgpr_dispatch_id 0
		.amdhsa_user_sgpr_flat_scratch_init 0
		.amdhsa_user_sgpr_private_segment_size 0
		.amdhsa_uses_dynamic_stack 0
		.amdhsa_system_sgpr_private_segment_wavefront_offset 0
		.amdhsa_system_sgpr_workgroup_id_x 1
		.amdhsa_system_sgpr_workgroup_id_y 0
		.amdhsa_system_sgpr_workgroup_id_z 0
		.amdhsa_system_sgpr_workgroup_info 0
		.amdhsa_system_vgpr_workitem_id 0
		.amdhsa_next_free_vgpr 139
		.amdhsa_next_free_sgpr 7
		.amdhsa_reserve_vcc 1
		.amdhsa_reserve_flat_scratch 0
		.amdhsa_float_round_mode_32 0
		.amdhsa_float_round_mode_16_64 0
		.amdhsa_float_denorm_mode_32 3
		.amdhsa_float_denorm_mode_16_64 3
		.amdhsa_dx10_clamp 1
		.amdhsa_ieee_mode 1
		.amdhsa_fp16_overflow 0
		.amdhsa_exception_fp_ieee_invalid_op 0
		.amdhsa_exception_fp_denorm_src 0
		.amdhsa_exception_fp_ieee_div_zero 0
		.amdhsa_exception_fp_ieee_overflow 0
		.amdhsa_exception_fp_ieee_underflow 0
		.amdhsa_exception_fp_ieee_inexact 0
		.amdhsa_exception_int_div_zero 0
	.end_amdhsa_kernel
	.section	.text._Z16warp_load_kernelILj256ELj64ELj64ELN6hipcub17WarpLoadAlgorithmE0EdEvPT3_S3_,"axG",@progbits,_Z16warp_load_kernelILj256ELj64ELj64ELN6hipcub17WarpLoadAlgorithmE0EdEvPT3_S3_,comdat
.Lfunc_end70:
	.size	_Z16warp_load_kernelILj256ELj64ELj64ELN6hipcub17WarpLoadAlgorithmE0EdEvPT3_S3_, .Lfunc_end70-_Z16warp_load_kernelILj256ELj64ELj64ELN6hipcub17WarpLoadAlgorithmE0EdEvPT3_S3_
                                        ; -- End function
	.set _Z16warp_load_kernelILj256ELj64ELj64ELN6hipcub17WarpLoadAlgorithmE0EdEvPT3_S3_.num_vgpr, 139
	.set _Z16warp_load_kernelILj256ELj64ELj64ELN6hipcub17WarpLoadAlgorithmE0EdEvPT3_S3_.num_agpr, 0
	.set _Z16warp_load_kernelILj256ELj64ELj64ELN6hipcub17WarpLoadAlgorithmE0EdEvPT3_S3_.numbered_sgpr, 7
	.set _Z16warp_load_kernelILj256ELj64ELj64ELN6hipcub17WarpLoadAlgorithmE0EdEvPT3_S3_.num_named_barrier, 0
	.set _Z16warp_load_kernelILj256ELj64ELj64ELN6hipcub17WarpLoadAlgorithmE0EdEvPT3_S3_.private_seg_size, 0
	.set _Z16warp_load_kernelILj256ELj64ELj64ELN6hipcub17WarpLoadAlgorithmE0EdEvPT3_S3_.uses_vcc, 1
	.set _Z16warp_load_kernelILj256ELj64ELj64ELN6hipcub17WarpLoadAlgorithmE0EdEvPT3_S3_.uses_flat_scratch, 0
	.set _Z16warp_load_kernelILj256ELj64ELj64ELN6hipcub17WarpLoadAlgorithmE0EdEvPT3_S3_.has_dyn_sized_stack, 0
	.set _Z16warp_load_kernelILj256ELj64ELj64ELN6hipcub17WarpLoadAlgorithmE0EdEvPT3_S3_.has_recursion, 0
	.set _Z16warp_load_kernelILj256ELj64ELj64ELN6hipcub17WarpLoadAlgorithmE0EdEvPT3_S3_.has_indirect_call, 0
	.section	.AMDGPU.csdata,"",@progbits
; Kernel info:
; codeLenInByte = 2828
; TotalNumSgprs: 11
; NumVgprs: 139
; ScratchSize: 0
; MemoryBound: 1
; FloatMode: 240
; IeeeMode: 1
; LDSByteSize: 0 bytes/workgroup (compile time only)
; SGPRBlocks: 1
; VGPRBlocks: 34
; NumSGPRsForWavesPerEU: 11
; NumVGPRsForWavesPerEU: 139
; Occupancy: 1
; WaveLimiterHint : 1
; COMPUTE_PGM_RSRC2:SCRATCH_EN: 0
; COMPUTE_PGM_RSRC2:USER_SGPR: 6
; COMPUTE_PGM_RSRC2:TRAP_HANDLER: 0
; COMPUTE_PGM_RSRC2:TGID_X_EN: 1
; COMPUTE_PGM_RSRC2:TGID_Y_EN: 0
; COMPUTE_PGM_RSRC2:TGID_Z_EN: 0
; COMPUTE_PGM_RSRC2:TIDIG_COMP_CNT: 0
	.section	.text._Z16warp_load_kernelILj256ELj64ELj64ELN6hipcub17WarpLoadAlgorithmE1EdEvPT3_S3_,"axG",@progbits,_Z16warp_load_kernelILj256ELj64ELj64ELN6hipcub17WarpLoadAlgorithmE1EdEvPT3_S3_,comdat
	.protected	_Z16warp_load_kernelILj256ELj64ELj64ELN6hipcub17WarpLoadAlgorithmE1EdEvPT3_S3_ ; -- Begin function _Z16warp_load_kernelILj256ELj64ELj64ELN6hipcub17WarpLoadAlgorithmE1EdEvPT3_S3_
	.globl	_Z16warp_load_kernelILj256ELj64ELj64ELN6hipcub17WarpLoadAlgorithmE1EdEvPT3_S3_
	.p2align	8
	.type	_Z16warp_load_kernelILj256ELj64ELj64ELN6hipcub17WarpLoadAlgorithmE1EdEvPT3_S3_,@function
_Z16warp_load_kernelILj256ELj64ELj64ELN6hipcub17WarpLoadAlgorithmE1EdEvPT3_S3_: ; @_Z16warp_load_kernelILj256ELj64ELj64ELN6hipcub17WarpLoadAlgorithmE1EdEvPT3_S3_
; %bb.0:
	v_mbcnt_lo_u32_b32 v1, -1, 0
	s_load_dwordx4 s[0:3], s[4:5], 0x0
	v_mbcnt_hi_u32_b32 v5, -1, v1
	v_lshlrev_b32_e32 v1, 6, v0
	s_lshl_b32 s4, s6, 14
	v_and_b32_e32 v1, 0x3000, v1
	v_or_b32_e32 v1, s4, v1
	v_mov_b32_e32 v2, 0
	v_lshlrev_b64 v[3:4], 3, v[1:2]
	s_waitcnt lgkmcnt(0)
	v_mov_b32_e32 v1, s1
	v_add_co_u32_e32 v3, vcc, s0, v3
	v_addc_co_u32_e32 v1, vcc, v1, v4, vcc
	v_lshlrev_b32_e32 v4, 3, v5
	v_add_co_u32_e32 v3, vcc, v3, v4
	v_lshlrev_b32_e32 v4, 9, v5
	v_addc_co_u32_e32 v1, vcc, 0, v1, vcc
	v_and_b32_e32 v4, 0x8000, v4
	v_add_co_u32_e32 v3, vcc, v3, v4
	v_addc_co_u32_e32 v4, vcc, 0, v1, vcc
	global_load_dwordx2 v[43:44], v[3:4], off
	global_load_dwordx2 v[45:46], v[3:4], off offset:512
	global_load_dwordx2 v[49:50], v[3:4], off offset:1024
	s_movk_i32 s0, 0x1000
	v_add_co_u32_e32 v5, vcc, s0, v3
	v_addc_co_u32_e32 v6, vcc, 0, v4, vcc
	s_movk_i32 s0, 0x2000
	v_add_co_u32_e32 v39, vcc, s0, v3
	s_movk_i32 s5, 0x3000
	v_addc_co_u32_e32 v40, vcc, 0, v4, vcc
	v_add_co_u32_e32 v7, vcc, s5, v3
	v_addc_co_u32_e32 v8, vcc, 0, v4, vcc
	s_movk_i32 s0, 0x4000
	v_add_co_u32_e32 v9, vcc, s0, v3
	v_addc_co_u32_e32 v10, vcc, 0, v4, vcc
	s_movk_i32 s0, 0x5000
	v_or_b32_e32 v1, s4, v0
	v_add_co_u32_e32 v41, vcc, s0, v3
	v_lshlrev_b64 v[11:12], 3, v[1:2]
	v_addc_co_u32_e32 v42, vcc, 0, v4, vcc
	v_mov_b32_e32 v0, s3
	v_add_co_u32_e32 v47, vcc, s2, v11
	s_movk_i32 s0, 0x6000
	v_addc_co_u32_e32 v48, vcc, v0, v12, vcc
	v_add_co_u32_e32 v11, vcc, s0, v3
	v_addc_co_u32_e32 v12, vcc, 0, v4, vcc
	s_movk_i32 s0, 0x7000
	v_add_co_u32_e32 v51, vcc, s0, v3
	v_addc_co_u32_e32 v52, vcc, 0, v4, vcc
	global_load_dwordx2 v[53:54], v[3:4], off offset:1536
	global_load_dwordx2 v[55:56], v[3:4], off offset:2048
	;; [unrolled: 1-line block ×5, first 2 shown]
	global_load_dwordx2 v[63:64], v[39:40], off offset:-4096
	global_load_dwordx2 v[65:66], v[39:40], off offset:1024
	global_load_dwordx2 v[67:68], v[39:40], off offset:1536
	;; [unrolled: 1-line block ×6, first 2 shown]
	global_load_dwordx2 v[77:78], v[9:10], off offset:-4096
	global_load_dwordx2 v[79:80], v[9:10], off
	global_load_dwordx2 v[81:82], v[9:10], off offset:512
                                        ; kill: killed $vgpr3 killed $vgpr4
	global_load_dwordx2 v[83:84], v[9:10], off offset:1024
	global_load_dwordx2 v[85:86], v[9:10], off offset:1536
	;; [unrolled: 1-line block ×6, first 2 shown]
	global_load_dwordx2 v[95:96], v[11:12], off offset:-4096
	global_load_dwordx2 v[33:34], v[11:12], off
	global_load_dwordx2 v[31:32], v[11:12], off offset:512
	global_load_dwordx2 v[29:30], v[11:12], off offset:1024
	;; [unrolled: 1-line block ×7, first 2 shown]
                                        ; kill: killed $vgpr9 killed $vgpr10
                                        ; kill: killed $vgpr11 killed $vgpr12
	global_load_dwordx2 v[97:98], v[5:6], off offset:512
	global_load_dwordx2 v[99:100], v[5:6], off offset:1024
	;; [unrolled: 1-line block ×15, first 2 shown]
                                        ; kill: killed $vgpr5 killed $vgpr6
                                        ; kill: killed $vgpr7 killed $vgpr8
	global_load_dwordx2 v[127:128], v[41:42], off offset:1024
	global_load_dwordx2 v[129:130], v[41:42], off offset:1536
	;; [unrolled: 1-line block ×6, first 2 shown]
	global_load_dwordx2 v[21:22], v[51:52], off
	global_load_dwordx2 v[17:18], v[51:52], off offset:512
	global_load_dwordx2 v[13:14], v[51:52], off offset:1024
	;; [unrolled: 1-line block ×4, first 2 shown]
                                        ; kill: killed $vgpr41 killed $vgpr42
	global_load_dwordx2 v[7:8], v[51:52], off offset:2560
	global_load_dwordx2 v[5:6], v[51:52], off offset:3072
	global_load_dwordx2 v[41:42], v[39:40], off
	s_nop 0
	global_load_dwordx2 v[39:40], v[39:40], off offset:512
	s_nop 0
	global_load_dwordx2 v[3:4], v[51:52], off offset:3584
	s_waitcnt vmcnt(62)
	global_store_dwordx2 v[47:48], v[43:44], off
	global_store_dwordx2 v[47:48], v[45:46], off offset:2048
	v_or_b32_e32 v43, 0x200, v1
	v_mov_b32_e32 v44, v2
	v_lshlrev_b64 v[43:44], 3, v[43:44]
	v_add_co_u32_e32 v43, vcc, s2, v43
	v_addc_co_u32_e32 v44, vcc, v0, v44, vcc
	s_waitcnt vmcnt(62)
	global_store_dwordx2 v[43:44], v[49:50], off
	v_or_b32_e32 v43, 0x300, v1
	v_mov_b32_e32 v44, v2
	v_lshlrev_b64 v[43:44], 3, v[43:44]
	v_add_co_u32_e32 v43, vcc, s2, v43
	v_addc_co_u32_e32 v44, vcc, v0, v44, vcc
	global_store_dwordx2 v[43:44], v[53:54], off
	v_or_b32_e32 v43, 0x400, v1
	v_mov_b32_e32 v44, v2
	v_lshlrev_b64 v[43:44], 3, v[43:44]
	v_add_co_u32_e32 v43, vcc, s2, v43
	v_addc_co_u32_e32 v44, vcc, v0, v44, vcc
	s_waitcnt vmcnt(62)
	global_store_dwordx2 v[43:44], v[55:56], off
	v_or_b32_e32 v43, 0x500, v1
	v_mov_b32_e32 v44, v2
	v_lshlrev_b64 v[43:44], 3, v[43:44]
	v_add_co_u32_e32 v43, vcc, s2, v43
	v_addc_co_u32_e32 v44, vcc, v0, v44, vcc
	global_store_dwordx2 v[43:44], v[57:58], off
	;; [unrolled: 13-line block ×3, first 2 shown]
	v_or_b32_e32 v43, 0x800, v1
	v_mov_b32_e32 v44, v2
	v_lshlrev_b64 v[43:44], 3, v[43:44]
	v_add_co_u32_e32 v43, vcc, s2, v43
	v_addc_co_u32_e32 v44, vcc, v0, v44, vcc
	s_waitcnt vmcnt(62)
	global_store_dwordx2 v[43:44], v[63:64], off
	v_or_b32_e32 v43, 0x900, v1
	v_mov_b32_e32 v44, v2
	v_lshlrev_b64 v[43:44], 3, v[43:44]
	v_add_co_u32_e32 v43, vcc, s2, v43
	v_addc_co_u32_e32 v44, vcc, v0, v44, vcc
	s_waitcnt vmcnt(39)
	global_store_dwordx2 v[43:44], v[97:98], off
	;; [unrolled: 7-line block ×10, first 2 shown]
	v_or_b32_e32 v39, 0x1200, v1
	v_mov_b32_e32 v40, v2
	v_lshlrev_b64 v[39:40], 3, v[39:40]
	v_add_co_u32_e32 v39, vcc, s2, v39
	v_addc_co_u32_e32 v40, vcc, v0, v40, vcc
	global_store_dwordx2 v[39:40], v[65:66], off
	v_or_b32_e32 v39, 0x1300, v1
	v_mov_b32_e32 v40, v2
	v_lshlrev_b64 v[39:40], 3, v[39:40]
	v_add_co_u32_e32 v39, vcc, s2, v39
	v_addc_co_u32_e32 v40, vcc, v0, v40, vcc
	global_store_dwordx2 v[39:40], v[67:68], off
	;; [unrolled: 6-line block ×44, first 2 shown]
	v_or_b32_e32 v7, 0x3e00, v1
	v_mov_b32_e32 v8, v2
	v_lshlrev_b64 v[7:8], 3, v[7:8]
	v_or_b32_e32 v1, 0x3f00, v1
	v_add_co_u32_e32 v7, vcc, s2, v7
	v_addc_co_u32_e32 v8, vcc, v0, v8, vcc
	v_lshlrev_b64 v[0:1], 3, v[1:2]
	v_mov_b32_e32 v2, s3
	v_add_co_u32_e32 v0, vcc, s2, v0
	v_addc_co_u32_e32 v1, vcc, v2, v1, vcc
	global_store_dwordx2 v[7:8], v[5:6], off
	s_waitcnt vmcnt(62)
	global_store_dwordx2 v[0:1], v[3:4], off
	s_endpgm
	.section	.rodata,"a",@progbits
	.p2align	6, 0x0
	.amdhsa_kernel _Z16warp_load_kernelILj256ELj64ELj64ELN6hipcub17WarpLoadAlgorithmE1EdEvPT3_S3_
		.amdhsa_group_segment_fixed_size 0
		.amdhsa_private_segment_fixed_size 0
		.amdhsa_kernarg_size 16
		.amdhsa_user_sgpr_count 6
		.amdhsa_user_sgpr_private_segment_buffer 1
		.amdhsa_user_sgpr_dispatch_ptr 0
		.amdhsa_user_sgpr_queue_ptr 0
		.amdhsa_user_sgpr_kernarg_segment_ptr 1
		.amdhsa_user_sgpr_dispatch_id 0
		.amdhsa_user_sgpr_flat_scratch_init 0
		.amdhsa_user_sgpr_private_segment_size 0
		.amdhsa_uses_dynamic_stack 0
		.amdhsa_system_sgpr_private_segment_wavefront_offset 0
		.amdhsa_system_sgpr_workgroup_id_x 1
		.amdhsa_system_sgpr_workgroup_id_y 0
		.amdhsa_system_sgpr_workgroup_id_z 0
		.amdhsa_system_sgpr_workgroup_info 0
		.amdhsa_system_vgpr_workitem_id 0
		.amdhsa_next_free_vgpr 135
		.amdhsa_next_free_sgpr 7
		.amdhsa_reserve_vcc 1
		.amdhsa_reserve_flat_scratch 0
		.amdhsa_float_round_mode_32 0
		.amdhsa_float_round_mode_16_64 0
		.amdhsa_float_denorm_mode_32 3
		.amdhsa_float_denorm_mode_16_64 3
		.amdhsa_dx10_clamp 1
		.amdhsa_ieee_mode 1
		.amdhsa_fp16_overflow 0
		.amdhsa_exception_fp_ieee_invalid_op 0
		.amdhsa_exception_fp_denorm_src 0
		.amdhsa_exception_fp_ieee_div_zero 0
		.amdhsa_exception_fp_ieee_overflow 0
		.amdhsa_exception_fp_ieee_underflow 0
		.amdhsa_exception_fp_ieee_inexact 0
		.amdhsa_exception_int_div_zero 0
	.end_amdhsa_kernel
	.section	.text._Z16warp_load_kernelILj256ELj64ELj64ELN6hipcub17WarpLoadAlgorithmE1EdEvPT3_S3_,"axG",@progbits,_Z16warp_load_kernelILj256ELj64ELj64ELN6hipcub17WarpLoadAlgorithmE1EdEvPT3_S3_,comdat
.Lfunc_end71:
	.size	_Z16warp_load_kernelILj256ELj64ELj64ELN6hipcub17WarpLoadAlgorithmE1EdEvPT3_S3_, .Lfunc_end71-_Z16warp_load_kernelILj256ELj64ELj64ELN6hipcub17WarpLoadAlgorithmE1EdEvPT3_S3_
                                        ; -- End function
	.set _Z16warp_load_kernelILj256ELj64ELj64ELN6hipcub17WarpLoadAlgorithmE1EdEvPT3_S3_.num_vgpr, 135
	.set _Z16warp_load_kernelILj256ELj64ELj64ELN6hipcub17WarpLoadAlgorithmE1EdEvPT3_S3_.num_agpr, 0
	.set _Z16warp_load_kernelILj256ELj64ELj64ELN6hipcub17WarpLoadAlgorithmE1EdEvPT3_S3_.numbered_sgpr, 7
	.set _Z16warp_load_kernelILj256ELj64ELj64ELN6hipcub17WarpLoadAlgorithmE1EdEvPT3_S3_.num_named_barrier, 0
	.set _Z16warp_load_kernelILj256ELj64ELj64ELN6hipcub17WarpLoadAlgorithmE1EdEvPT3_S3_.private_seg_size, 0
	.set _Z16warp_load_kernelILj256ELj64ELj64ELN6hipcub17WarpLoadAlgorithmE1EdEvPT3_S3_.uses_vcc, 1
	.set _Z16warp_load_kernelILj256ELj64ELj64ELN6hipcub17WarpLoadAlgorithmE1EdEvPT3_S3_.uses_flat_scratch, 0
	.set _Z16warp_load_kernelILj256ELj64ELj64ELN6hipcub17WarpLoadAlgorithmE1EdEvPT3_S3_.has_dyn_sized_stack, 0
	.set _Z16warp_load_kernelILj256ELj64ELj64ELN6hipcub17WarpLoadAlgorithmE1EdEvPT3_S3_.has_recursion, 0
	.set _Z16warp_load_kernelILj256ELj64ELj64ELN6hipcub17WarpLoadAlgorithmE1EdEvPT3_S3_.has_indirect_call, 0
	.section	.AMDGPU.csdata,"",@progbits
; Kernel info:
; codeLenInByte = 3044
; TotalNumSgprs: 11
; NumVgprs: 135
; ScratchSize: 0
; MemoryBound: 1
; FloatMode: 240
; IeeeMode: 1
; LDSByteSize: 0 bytes/workgroup (compile time only)
; SGPRBlocks: 1
; VGPRBlocks: 33
; NumSGPRsForWavesPerEU: 11
; NumVGPRsForWavesPerEU: 135
; Occupancy: 1
; WaveLimiterHint : 1
; COMPUTE_PGM_RSRC2:SCRATCH_EN: 0
; COMPUTE_PGM_RSRC2:USER_SGPR: 6
; COMPUTE_PGM_RSRC2:TRAP_HANDLER: 0
; COMPUTE_PGM_RSRC2:TGID_X_EN: 1
; COMPUTE_PGM_RSRC2:TGID_Y_EN: 0
; COMPUTE_PGM_RSRC2:TGID_Z_EN: 0
; COMPUTE_PGM_RSRC2:TIDIG_COMP_CNT: 0
	.section	.text._Z16warp_load_kernelILj256ELj64ELj64ELN6hipcub17WarpLoadAlgorithmE2EdEvPT3_S3_,"axG",@progbits,_Z16warp_load_kernelILj256ELj64ELj64ELN6hipcub17WarpLoadAlgorithmE2EdEvPT3_S3_,comdat
	.protected	_Z16warp_load_kernelILj256ELj64ELj64ELN6hipcub17WarpLoadAlgorithmE2EdEvPT3_S3_ ; -- Begin function _Z16warp_load_kernelILj256ELj64ELj64ELN6hipcub17WarpLoadAlgorithmE2EdEvPT3_S3_
	.globl	_Z16warp_load_kernelILj256ELj64ELj64ELN6hipcub17WarpLoadAlgorithmE2EdEvPT3_S3_
	.p2align	8
	.type	_Z16warp_load_kernelILj256ELj64ELj64ELN6hipcub17WarpLoadAlgorithmE2EdEvPT3_S3_,@function
_Z16warp_load_kernelILj256ELj64ELj64ELN6hipcub17WarpLoadAlgorithmE2EdEvPT3_S3_: ; @_Z16warp_load_kernelILj256ELj64ELj64ELN6hipcub17WarpLoadAlgorithmE2EdEvPT3_S3_
; %bb.0:
	v_mbcnt_lo_u32_b32 v1, -1, 0
	s_load_dwordx4 s[0:3], s[4:5], 0x0
	v_mbcnt_hi_u32_b32 v3, -1, v1
	v_lshlrev_b32_e32 v1, 6, v0
	s_lshl_b32 s4, s6, 14
	v_and_b32_e32 v1, 0x3000, v1
	v_or_b32_e32 v36, s4, v1
	v_mov_b32_e32 v37, 0
	v_lshlrev_b64 v[1:2], 3, v[36:37]
	s_waitcnt lgkmcnt(0)
	v_mov_b32_e32 v4, s1
	v_add_co_u32_e32 v1, vcc, s0, v1
	v_addc_co_u32_e32 v2, vcc, v4, v2, vcc
	v_lshlrev_b32_e32 v3, 9, v3
	v_add_co_u32_e32 v12, vcc, v1, v3
	v_addc_co_u32_e32 v13, vcc, 0, v2, vcc
	global_load_dwordx4 v[38:41], v[12:13], off
	global_load_dwordx4 v[42:45], v[12:13], off offset:16
	global_load_dwordx4 v[46:49], v[12:13], off offset:32
	;; [unrolled: 1-line block ×5, first 2 shown]
	v_or_b32_e32 v36, s4, v0
	v_lshlrev_b64 v[6:7], 3, v[36:37]
	v_mov_b32_e32 v1, v37
	v_or_b32_e32 v0, 0x200, v36
	v_mov_b32_e32 v8, s3
	v_lshlrev_b64 v[0:1], 3, v[0:1]
	v_add_co_u32_e32 v131, vcc, s2, v6
	v_mov_b32_e32 v3, v37
	v_or_b32_e32 v2, 0x300, v36
	v_addc_co_u32_e32 v132, vcc, v8, v7, vcc
	v_mov_b32_e32 v9, s3
	v_lshlrev_b64 v[2:3], 3, v[2:3]
	v_add_co_u32_e32 v133, vcc, s2, v0
	v_mov_b32_e32 v5, v37
	v_or_b32_e32 v4, 0x400, v36
	v_addc_co_u32_e32 v134, vcc, v9, v1, vcc
	v_mov_b32_e32 v10, s3
	v_lshlrev_b64 v[4:5], 3, v[4:5]
	v_add_co_u32_e32 v135, vcc, s2, v2
	v_addc_co_u32_e32 v136, vcc, v10, v3, vcc
	v_mov_b32_e32 v11, s3
	v_add_co_u32_e32 v137, vcc, s2, v4
	v_addc_co_u32_e32 v138, vcc, v11, v5, vcc
	global_load_dwordx4 v[62:65], v[12:13], off offset:112
	global_load_dwordx4 v[66:69], v[12:13], off offset:96
	;; [unrolled: 1-line block ×25, first 2 shown]
	s_nop 0
	global_load_dwordx4 v[12:15], v[12:13], off offset:448
	v_or_b32_e32 v130, 0x500, v36
	s_waitcnt vmcnt(31)
	global_store_dwordx2 v[131:132], v[38:39], off
	global_store_dwordx2 v[131:132], v[40:41], off offset:2048
	s_waitcnt vmcnt(32)
	global_store_dwordx2 v[133:134], v[42:43], off
	global_store_dwordx2 v[135:136], v[44:45], off
	v_mov_b32_e32 v131, v37
	v_lshlrev_b64 v[38:39], 3, v[130:131]
	v_mov_b32_e32 v40, s3
	v_add_co_u32_e32 v38, vcc, s2, v38
	v_addc_co_u32_e32 v39, vcc, v40, v39, vcc
	s_waitcnt vmcnt(33)
	global_store_dwordx2 v[137:138], v[46:47], off
	global_store_dwordx2 v[38:39], v[48:49], off
	v_or_b32_e32 v38, 0x600, v36
	v_mov_b32_e32 v39, v37
	v_lshlrev_b64 v[38:39], 3, v[38:39]
	v_mov_b32_e32 v41, v37
	v_add_co_u32_e32 v38, vcc, s2, v38
	v_addc_co_u32_e32 v39, vcc, v40, v39, vcc
	v_or_b32_e32 v40, 0x700, v36
	v_lshlrev_b64 v[40:41], 3, v[40:41]
	v_mov_b32_e32 v42, s3
	v_add_co_u32_e32 v40, vcc, s2, v40
	v_addc_co_u32_e32 v41, vcc, v42, v41, vcc
	s_waitcnt vmcnt(34)
	global_store_dwordx2 v[38:39], v[50:51], off
	global_store_dwordx2 v[40:41], v[52:53], off
	v_or_b32_e32 v38, 0x800, v36
	v_mov_b32_e32 v39, v37
	v_lshlrev_b64 v[38:39], 3, v[38:39]
	v_mov_b32_e32 v40, s3
	v_add_co_u32_e32 v38, vcc, s2, v38
	v_addc_co_u32_e32 v39, vcc, v40, v39, vcc
	v_or_b32_e32 v40, 0x900, v36
	v_mov_b32_e32 v41, v37
	v_lshlrev_b64 v[40:41], 3, v[40:41]
	v_add_co_u32_e32 v40, vcc, s2, v40
	v_addc_co_u32_e32 v41, vcc, v42, v41, vcc
	s_waitcnt vmcnt(34)
	global_store_dwordx2 v[38:39], v[58:59], off
	global_store_dwordx2 v[40:41], v[60:61], off
	v_or_b32_e32 v38, 0xa00, v36
	v_mov_b32_e32 v39, v37
	v_lshlrev_b64 v[38:39], 3, v[38:39]
	v_mov_b32_e32 v40, s3
	v_add_co_u32_e32 v38, vcc, s2, v38
	v_addc_co_u32_e32 v39, vcc, v40, v39, vcc
	v_or_b32_e32 v40, 0xb00, v36
	v_mov_b32_e32 v41, v37
	v_lshlrev_b64 v[40:41], 3, v[40:41]
	v_add_co_u32_e32 v40, vcc, s2, v40
	v_addc_co_u32_e32 v41, vcc, v42, v41, vcc
	global_store_dwordx2 v[38:39], v[54:55], off
	global_store_dwordx2 v[40:41], v[56:57], off
	v_or_b32_e32 v38, 0xc00, v36
	v_mov_b32_e32 v39, v37
	v_lshlrev_b64 v[38:39], 3, v[38:39]
	v_mov_b32_e32 v40, s3
	v_add_co_u32_e32 v38, vcc, s2, v38
	v_addc_co_u32_e32 v39, vcc, v40, v39, vcc
	v_or_b32_e32 v40, 0xd00, v36
	v_mov_b32_e32 v41, v37
	v_lshlrev_b64 v[40:41], 3, v[40:41]
	v_add_co_u32_e32 v40, vcc, s2, v40
	v_addc_co_u32_e32 v41, vcc, v42, v41, vcc
	s_waitcnt vmcnt(36)
	global_store_dwordx2 v[38:39], v[66:67], off
	global_store_dwordx2 v[40:41], v[68:69], off
	v_or_b32_e32 v38, 0xe00, v36
	v_mov_b32_e32 v39, v37
	v_lshlrev_b64 v[38:39], 3, v[38:39]
	v_mov_b32_e32 v40, s3
	v_add_co_u32_e32 v38, vcc, s2, v38
	v_addc_co_u32_e32 v39, vcc, v40, v39, vcc
	v_or_b32_e32 v40, 0xf00, v36
	v_mov_b32_e32 v41, v37
	v_lshlrev_b64 v[40:41], 3, v[40:41]
	v_add_co_u32_e32 v40, vcc, s2, v40
	v_addc_co_u32_e32 v41, vcc, v42, v41, vcc
	;; [unrolled: 27-line block ×3, first 2 shown]
	global_store_dwordx2 v[38:39], v[78:79], off
	global_store_dwordx2 v[40:41], v[80:81], off
	v_or_b32_e32 v38, 0x1400, v36
	v_mov_b32_e32 v39, v37
	v_lshlrev_b64 v[38:39], 3, v[38:39]
	v_mov_b32_e32 v40, s3
	v_add_co_u32_e32 v38, vcc, s2, v38
	v_addc_co_u32_e32 v39, vcc, v40, v39, vcc
	v_or_b32_e32 v40, 0x1500, v36
	v_mov_b32_e32 v41, v37
	v_lshlrev_b64 v[40:41], 3, v[40:41]
	v_add_co_u32_e32 v40, vcc, s2, v40
	v_addc_co_u32_e32 v41, vcc, v42, v41, vcc
	global_store_dwordx2 v[38:39], v[74:75], off
	global_store_dwordx2 v[40:41], v[76:77], off
	v_or_b32_e32 v38, 0x1600, v36
	v_mov_b32_e32 v39, v37
	v_lshlrev_b64 v[38:39], 3, v[38:39]
	v_mov_b32_e32 v40, s3
	v_add_co_u32_e32 v38, vcc, s2, v38
	v_addc_co_u32_e32 v39, vcc, v40, v39, vcc
	v_or_b32_e32 v40, 0x1700, v36
	v_mov_b32_e32 v41, v37
	v_lshlrev_b64 v[40:41], 3, v[40:41]
	v_add_co_u32_e32 v40, vcc, s2, v40
	v_addc_co_u32_e32 v41, vcc, v42, v41, vcc
	global_store_dwordx2 v[38:39], v[70:71], off
	global_store_dwordx2 v[40:41], v[72:73], off
	v_or_b32_e32 v38, 0x1800, v36
	v_mov_b32_e32 v39, v37
	v_lshlrev_b64 v[38:39], 3, v[38:39]
	v_mov_b32_e32 v40, s3
	v_add_co_u32_e32 v38, vcc, s2, v38
	v_addc_co_u32_e32 v39, vcc, v40, v39, vcc
	v_or_b32_e32 v40, 0x1900, v36
	v_mov_b32_e32 v41, v37
	v_lshlrev_b64 v[40:41], 3, v[40:41]
	v_add_co_u32_e32 v40, vcc, s2, v40
	v_addc_co_u32_e32 v41, vcc, v42, v41, vcc
	s_waitcnt vmcnt(40)
	global_store_dwordx2 v[38:39], v[98:99], off
	global_store_dwordx2 v[40:41], v[100:101], off
	v_or_b32_e32 v38, 0x1a00, v36
	v_mov_b32_e32 v39, v37
	v_lshlrev_b64 v[38:39], 3, v[38:39]
	v_mov_b32_e32 v40, s3
	v_add_co_u32_e32 v38, vcc, s2, v38
	v_addc_co_u32_e32 v39, vcc, v40, v39, vcc
	v_or_b32_e32 v40, 0x1b00, v36
	v_mov_b32_e32 v41, v37
	v_lshlrev_b64 v[40:41], 3, v[40:41]
	v_add_co_u32_e32 v40, vcc, s2, v40
	v_addc_co_u32_e32 v41, vcc, v42, v41, vcc
	global_store_dwordx2 v[38:39], v[94:95], off
	global_store_dwordx2 v[40:41], v[96:97], off
	v_or_b32_e32 v38, 0x1c00, v36
	v_mov_b32_e32 v39, v37
	v_lshlrev_b64 v[38:39], 3, v[38:39]
	v_mov_b32_e32 v40, s3
	v_add_co_u32_e32 v38, vcc, s2, v38
	v_addc_co_u32_e32 v39, vcc, v40, v39, vcc
	v_or_b32_e32 v40, 0x1d00, v36
	v_mov_b32_e32 v41, v37
	v_lshlrev_b64 v[40:41], 3, v[40:41]
	v_add_co_u32_e32 v40, vcc, s2, v40
	v_addc_co_u32_e32 v41, vcc, v42, v41, vcc
	global_store_dwordx2 v[38:39], v[90:91], off
	global_store_dwordx2 v[40:41], v[92:93], off
	v_or_b32_e32 v38, 0x1e00, v36
	v_mov_b32_e32 v39, v37
	v_lshlrev_b64 v[38:39], 3, v[38:39]
	v_mov_b32_e32 v40, s3
	v_add_co_u32_e32 v38, vcc, s2, v38
	v_addc_co_u32_e32 v39, vcc, v40, v39, vcc
	v_or_b32_e32 v40, 0x1f00, v36
	v_mov_b32_e32 v41, v37
	v_lshlrev_b64 v[40:41], 3, v[40:41]
	v_add_co_u32_e32 v40, vcc, s2, v40
	v_addc_co_u32_e32 v41, vcc, v42, v41, vcc
	global_store_dwordx2 v[38:39], v[86:87], off
	global_store_dwordx2 v[40:41], v[88:89], off
	v_or_b32_e32 v38, 0x2000, v36
	v_mov_b32_e32 v39, v37
	v_lshlrev_b64 v[38:39], 3, v[38:39]
	v_mov_b32_e32 v40, s3
	v_add_co_u32_e32 v38, vcc, s2, v38
	v_addc_co_u32_e32 v39, vcc, v40, v39, vcc
	v_or_b32_e32 v40, 0x2100, v36
	v_mov_b32_e32 v41, v37
	v_lshlrev_b64 v[40:41], 3, v[40:41]
	v_add_co_u32_e32 v40, vcc, s2, v40
	v_addc_co_u32_e32 v41, vcc, v42, v41, vcc
	s_waitcnt vmcnt(44)
	global_store_dwordx2 v[38:39], v[114:115], off
	global_store_dwordx2 v[40:41], v[116:117], off
	v_or_b32_e32 v38, 0x2200, v36
	v_mov_b32_e32 v39, v37
	v_lshlrev_b64 v[38:39], 3, v[38:39]
	v_mov_b32_e32 v40, s3
	v_add_co_u32_e32 v38, vcc, s2, v38
	v_addc_co_u32_e32 v39, vcc, v40, v39, vcc
	v_or_b32_e32 v40, 0x2300, v36
	v_mov_b32_e32 v41, v37
	v_lshlrev_b64 v[40:41], 3, v[40:41]
	v_add_co_u32_e32 v40, vcc, s2, v40
	v_addc_co_u32_e32 v41, vcc, v42, v41, vcc
	;; [unrolled: 53-line block ×3, first 2 shown]
	global_store_dwordx2 v[38:39], v[122:123], off
	global_store_dwordx2 v[40:41], v[124:125], off
	v_or_b32_e32 v38, 0x2c00, v36
	v_mov_b32_e32 v39, v37
	v_lshlrev_b64 v[38:39], 3, v[38:39]
	v_mov_b32_e32 v40, s3
	v_add_co_u32_e32 v38, vcc, s2, v38
	v_addc_co_u32_e32 v39, vcc, v40, v39, vcc
	v_or_b32_e32 v40, 0x2d00, v36
	v_mov_b32_e32 v41, v37
	v_lshlrev_b64 v[40:41], 3, v[40:41]
	v_add_co_u32_e32 v40, vcc, s2, v40
	v_addc_co_u32_e32 v41, vcc, v42, v41, vcc
	global_store_dwordx2 v[38:39], v[118:119], off
	global_store_dwordx2 v[40:41], v[120:121], off
	v_or_b32_e32 v38, 0x2e00, v36
	v_mov_b32_e32 v39, v37
	v_lshlrev_b64 v[38:39], 3, v[38:39]
	v_mov_b32_e32 v40, s3
	v_add_co_u32_e32 v38, vcc, s2, v38
	v_addc_co_u32_e32 v39, vcc, v40, v39, vcc
	v_or_b32_e32 v40, 0x2f00, v36
	v_mov_b32_e32 v41, v37
	v_lshlrev_b64 v[40:41], 3, v[40:41]
	v_add_co_u32_e32 v40, vcc, s2, v40
	v_addc_co_u32_e32 v41, vcc, v42, v41, vcc
	global_store_dwordx2 v[38:39], v[32:33], off
	global_store_dwordx2 v[40:41], v[34:35], off
	v_or_b32_e32 v32, 0x3000, v36
	v_mov_b32_e32 v33, v37
	v_lshlrev_b64 v[32:33], 3, v[32:33]
	v_mov_b32_e32 v34, s3
	v_add_co_u32_e32 v32, vcc, s2, v32
	v_addc_co_u32_e32 v33, vcc, v34, v33, vcc
	v_or_b32_e32 v34, 0x3100, v36
	v_mov_b32_e32 v35, v37
	v_lshlrev_b64 v[34:35], 3, v[34:35]
	v_mov_b32_e32 v38, s3
	v_add_co_u32_e32 v34, vcc, s2, v34
	v_addc_co_u32_e32 v35, vcc, v38, v35, vcc
	s_waitcnt vmcnt(52)
	global_store_dwordx2 v[32:33], v[28:29], off
	global_store_dwordx2 v[34:35], v[30:31], off
	v_or_b32_e32 v28, 0x3200, v36
	v_mov_b32_e32 v29, v37
	v_lshlrev_b64 v[28:29], 3, v[28:29]
	v_mov_b32_e32 v30, s3
	v_add_co_u32_e32 v28, vcc, s2, v28
	v_addc_co_u32_e32 v29, vcc, v30, v29, vcc
	v_or_b32_e32 v30, 0x3300, v36
	v_mov_b32_e32 v31, v37
	v_lshlrev_b64 v[30:31], 3, v[30:31]
	v_mov_b32_e32 v32, s3
	v_add_co_u32_e32 v30, vcc, s2, v30
	v_addc_co_u32_e32 v31, vcc, v32, v31, vcc
	global_store_dwordx2 v[28:29], v[24:25], off
	global_store_dwordx2 v[30:31], v[26:27], off
	v_or_b32_e32 v24, 0x3400, v36
	v_mov_b32_e32 v25, v37
	v_lshlrev_b64 v[24:25], 3, v[24:25]
	v_mov_b32_e32 v26, s3
	v_add_co_u32_e32 v24, vcc, s2, v24
	v_addc_co_u32_e32 v25, vcc, v26, v25, vcc
	v_or_b32_e32 v26, 0x3500, v36
	v_mov_b32_e32 v27, v37
	v_lshlrev_b64 v[26:27], 3, v[26:27]
	v_mov_b32_e32 v28, s3
	v_add_co_u32_e32 v26, vcc, s2, v26
	v_addc_co_u32_e32 v27, vcc, v28, v27, vcc
	;; [unrolled: 14-line block ×4, first 2 shown]
	s_waitcnt vmcnt(56)
	global_store_dwordx2 v[16:17], v[12:13], off
	global_store_dwordx2 v[18:19], v[14:15], off
	v_or_b32_e32 v12, 0x3a00, v36
	v_mov_b32_e32 v13, v37
	v_lshlrev_b64 v[12:13], 3, v[12:13]
	v_mov_b32_e32 v14, s3
	v_add_co_u32_e32 v12, vcc, s2, v12
	v_addc_co_u32_e32 v13, vcc, v14, v13, vcc
	global_store_dwordx2 v[12:13], v[8:9], off
	v_or_b32_e32 v8, 0x3b00, v36
	v_mov_b32_e32 v9, v37
	v_lshlrev_b64 v[8:9], 3, v[8:9]
	v_mov_b32_e32 v12, s3
	v_add_co_u32_e32 v8, vcc, s2, v8
	v_addc_co_u32_e32 v9, vcc, v12, v9, vcc
	;; [unrolled: 7-line block ×5, first 2 shown]
	v_or_b32_e32 v36, 0x3f00, v36
	global_store_dwordx2 v[4:5], v[0:1], off
	v_lshlrev_b64 v[0:1], 3, v[36:37]
	v_mov_b32_e32 v4, s3
	v_add_co_u32_e32 v0, vcc, s2, v0
	v_addc_co_u32_e32 v1, vcc, v4, v1, vcc
	global_store_dwordx2 v[0:1], v[2:3], off
	s_endpgm
	.section	.rodata,"a",@progbits
	.p2align	6, 0x0
	.amdhsa_kernel _Z16warp_load_kernelILj256ELj64ELj64ELN6hipcub17WarpLoadAlgorithmE2EdEvPT3_S3_
		.amdhsa_group_segment_fixed_size 0
		.amdhsa_private_segment_fixed_size 0
		.amdhsa_kernarg_size 16
		.amdhsa_user_sgpr_count 6
		.amdhsa_user_sgpr_private_segment_buffer 1
		.amdhsa_user_sgpr_dispatch_ptr 0
		.amdhsa_user_sgpr_queue_ptr 0
		.amdhsa_user_sgpr_kernarg_segment_ptr 1
		.amdhsa_user_sgpr_dispatch_id 0
		.amdhsa_user_sgpr_flat_scratch_init 0
		.amdhsa_user_sgpr_private_segment_size 0
		.amdhsa_uses_dynamic_stack 0
		.amdhsa_system_sgpr_private_segment_wavefront_offset 0
		.amdhsa_system_sgpr_workgroup_id_x 1
		.amdhsa_system_sgpr_workgroup_id_y 0
		.amdhsa_system_sgpr_workgroup_id_z 0
		.amdhsa_system_sgpr_workgroup_info 0
		.amdhsa_system_vgpr_workitem_id 0
		.amdhsa_next_free_vgpr 139
		.amdhsa_next_free_sgpr 7
		.amdhsa_reserve_vcc 1
		.amdhsa_reserve_flat_scratch 0
		.amdhsa_float_round_mode_32 0
		.amdhsa_float_round_mode_16_64 0
		.amdhsa_float_denorm_mode_32 3
		.amdhsa_float_denorm_mode_16_64 3
		.amdhsa_dx10_clamp 1
		.amdhsa_ieee_mode 1
		.amdhsa_fp16_overflow 0
		.amdhsa_exception_fp_ieee_invalid_op 0
		.amdhsa_exception_fp_denorm_src 0
		.amdhsa_exception_fp_ieee_div_zero 0
		.amdhsa_exception_fp_ieee_overflow 0
		.amdhsa_exception_fp_ieee_underflow 0
		.amdhsa_exception_fp_ieee_inexact 0
		.amdhsa_exception_int_div_zero 0
	.end_amdhsa_kernel
	.section	.text._Z16warp_load_kernelILj256ELj64ELj64ELN6hipcub17WarpLoadAlgorithmE2EdEvPT3_S3_,"axG",@progbits,_Z16warp_load_kernelILj256ELj64ELj64ELN6hipcub17WarpLoadAlgorithmE2EdEvPT3_S3_,comdat
.Lfunc_end72:
	.size	_Z16warp_load_kernelILj256ELj64ELj64ELN6hipcub17WarpLoadAlgorithmE2EdEvPT3_S3_, .Lfunc_end72-_Z16warp_load_kernelILj256ELj64ELj64ELN6hipcub17WarpLoadAlgorithmE2EdEvPT3_S3_
                                        ; -- End function
	.set _Z16warp_load_kernelILj256ELj64ELj64ELN6hipcub17WarpLoadAlgorithmE2EdEvPT3_S3_.num_vgpr, 139
	.set _Z16warp_load_kernelILj256ELj64ELj64ELN6hipcub17WarpLoadAlgorithmE2EdEvPT3_S3_.num_agpr, 0
	.set _Z16warp_load_kernelILj256ELj64ELj64ELN6hipcub17WarpLoadAlgorithmE2EdEvPT3_S3_.numbered_sgpr, 7
	.set _Z16warp_load_kernelILj256ELj64ELj64ELN6hipcub17WarpLoadAlgorithmE2EdEvPT3_S3_.num_named_barrier, 0
	.set _Z16warp_load_kernelILj256ELj64ELj64ELN6hipcub17WarpLoadAlgorithmE2EdEvPT3_S3_.private_seg_size, 0
	.set _Z16warp_load_kernelILj256ELj64ELj64ELN6hipcub17WarpLoadAlgorithmE2EdEvPT3_S3_.uses_vcc, 1
	.set _Z16warp_load_kernelILj256ELj64ELj64ELN6hipcub17WarpLoadAlgorithmE2EdEvPT3_S3_.uses_flat_scratch, 0
	.set _Z16warp_load_kernelILj256ELj64ELj64ELN6hipcub17WarpLoadAlgorithmE2EdEvPT3_S3_.has_dyn_sized_stack, 0
	.set _Z16warp_load_kernelILj256ELj64ELj64ELN6hipcub17WarpLoadAlgorithmE2EdEvPT3_S3_.has_recursion, 0
	.set _Z16warp_load_kernelILj256ELj64ELj64ELN6hipcub17WarpLoadAlgorithmE2EdEvPT3_S3_.has_indirect_call, 0
	.section	.AMDGPU.csdata,"",@progbits
; Kernel info:
; codeLenInByte = 2828
; TotalNumSgprs: 11
; NumVgprs: 139
; ScratchSize: 0
; MemoryBound: 1
; FloatMode: 240
; IeeeMode: 1
; LDSByteSize: 0 bytes/workgroup (compile time only)
; SGPRBlocks: 1
; VGPRBlocks: 34
; NumSGPRsForWavesPerEU: 11
; NumVGPRsForWavesPerEU: 139
; Occupancy: 1
; WaveLimiterHint : 1
; COMPUTE_PGM_RSRC2:SCRATCH_EN: 0
; COMPUTE_PGM_RSRC2:USER_SGPR: 6
; COMPUTE_PGM_RSRC2:TRAP_HANDLER: 0
; COMPUTE_PGM_RSRC2:TGID_X_EN: 1
; COMPUTE_PGM_RSRC2:TGID_Y_EN: 0
; COMPUTE_PGM_RSRC2:TGID_Z_EN: 0
; COMPUTE_PGM_RSRC2:TIDIG_COMP_CNT: 0
	.section	.AMDGPU.gpr_maximums,"",@progbits
	.set amdgpu.max_num_vgpr, 0
	.set amdgpu.max_num_agpr, 0
	.set amdgpu.max_num_sgpr, 0
	.section	.AMDGPU.csdata,"",@progbits
	.type	__hip_cuid_2499c6cd80853277,@object ; @__hip_cuid_2499c6cd80853277
	.section	.bss,"aw",@nobits
	.globl	__hip_cuid_2499c6cd80853277
__hip_cuid_2499c6cd80853277:
	.byte	0                               ; 0x0
	.size	__hip_cuid_2499c6cd80853277, 1

	.ident	"AMD clang version 22.0.0git (https://github.com/RadeonOpenCompute/llvm-project roc-7.2.4 26084 f58b06dce1f9c15707c5f808fd002e18c2accf7e)"
	.section	".note.GNU-stack","",@progbits
	.addrsig
	.addrsig_sym __hip_cuid_2499c6cd80853277
	.amdgpu_metadata
---
amdhsa.kernels:
  - .args:
      - .address_space:  global
        .offset:         0
        .size:           8
        .value_kind:     global_buffer
      - .address_space:  global
        .offset:         8
        .size:           8
        .value_kind:     global_buffer
    .group_segment_fixed_size: 0
    .kernarg_segment_align: 8
    .kernarg_segment_size: 16
    .language:       OpenCL C
    .language_version:
      - 2
      - 0
    .max_flat_workgroup_size: 256
    .name:           _Z16warp_load_kernelILj256ELj4ELj32ELN6hipcub17WarpLoadAlgorithmE0EiEvPT3_S3_
    .private_segment_fixed_size: 0
    .sgpr_count:     11
    .sgpr_spill_count: 0
    .symbol:         _Z16warp_load_kernelILj256ELj4ELj32ELN6hipcub17WarpLoadAlgorithmE0EiEvPT3_S3_.kd
    .uniform_work_group_size: 1
    .uses_dynamic_stack: false
    .vgpr_count:     16
    .vgpr_spill_count: 0
    .wavefront_size: 64
  - .args:
      - .address_space:  global
        .offset:         0
        .size:           8
        .value_kind:     global_buffer
      - .address_space:  global
        .offset:         8
        .size:           8
        .value_kind:     global_buffer
    .group_segment_fixed_size: 0
    .kernarg_segment_align: 8
    .kernarg_segment_size: 16
    .language:       OpenCL C
    .language_version:
      - 2
      - 0
    .max_flat_workgroup_size: 256
    .name:           _Z16warp_load_kernelILj256ELj4ELj32ELN6hipcub17WarpLoadAlgorithmE1EiEvPT3_S3_
    .private_segment_fixed_size: 0
    .sgpr_count:     11
    .sgpr_spill_count: 0
    .symbol:         _Z16warp_load_kernelILj256ELj4ELj32ELN6hipcub17WarpLoadAlgorithmE1EiEvPT3_S3_.kd
    .uniform_work_group_size: 1
    .uses_dynamic_stack: false
    .vgpr_count:     17
    .vgpr_spill_count: 0
    .wavefront_size: 64
  - .args:
      - .address_space:  global
        .offset:         0
        .size:           8
        .value_kind:     global_buffer
      - .address_space:  global
        .offset:         8
        .size:           8
        .value_kind:     global_buffer
    .group_segment_fixed_size: 0
    .kernarg_segment_align: 8
    .kernarg_segment_size: 16
    .language:       OpenCL C
    .language_version:
      - 2
      - 0
    .max_flat_workgroup_size: 256
    .name:           _Z16warp_load_kernelILj256ELj4ELj32ELN6hipcub17WarpLoadAlgorithmE2EiEvPT3_S3_
    .private_segment_fixed_size: 0
    .sgpr_count:     11
    .sgpr_spill_count: 0
    .symbol:         _Z16warp_load_kernelILj256ELj4ELj32ELN6hipcub17WarpLoadAlgorithmE2EiEvPT3_S3_.kd
    .uniform_work_group_size: 1
    .uses_dynamic_stack: false
    .vgpr_count:     16
    .vgpr_spill_count: 0
    .wavefront_size: 64
  - .args:
      - .address_space:  global
        .offset:         0
        .size:           8
        .value_kind:     global_buffer
      - .address_space:  global
        .offset:         8
        .size:           8
        .value_kind:     global_buffer
    .group_segment_fixed_size: 4096
    .kernarg_segment_align: 8
    .kernarg_segment_size: 16
    .language:       OpenCL C
    .language_version:
      - 2
      - 0
    .max_flat_workgroup_size: 256
    .name:           _Z16warp_load_kernelILj256ELj4ELj32ELN6hipcub17WarpLoadAlgorithmE3EiEvPT3_S3_
    .private_segment_fixed_size: 0
    .sgpr_count:     11
    .sgpr_spill_count: 0
    .symbol:         _Z16warp_load_kernelILj256ELj4ELj32ELN6hipcub17WarpLoadAlgorithmE3EiEvPT3_S3_.kd
    .uniform_work_group_size: 1
    .uses_dynamic_stack: false
    .vgpr_count:     20
    .vgpr_spill_count: 0
    .wavefront_size: 64
  - .args:
      - .address_space:  global
        .offset:         0
        .size:           8
        .value_kind:     global_buffer
      - .address_space:  global
        .offset:         8
        .size:           8
        .value_kind:     global_buffer
    .group_segment_fixed_size: 0
    .kernarg_segment_align: 8
    .kernarg_segment_size: 16
    .language:       OpenCL C
    .language_version:
      - 2
      - 0
    .max_flat_workgroup_size: 256
    .name:           _Z16warp_load_kernelILj256ELj8ELj32ELN6hipcub17WarpLoadAlgorithmE0EiEvPT3_S3_
    .private_segment_fixed_size: 0
    .sgpr_count:     11
    .sgpr_spill_count: 0
    .symbol:         _Z16warp_load_kernelILj256ELj8ELj32ELN6hipcub17WarpLoadAlgorithmE0EiEvPT3_S3_.kd
    .uniform_work_group_size: 1
    .uses_dynamic_stack: false
    .vgpr_count:     19
    .vgpr_spill_count: 0
    .wavefront_size: 64
  - .args:
      - .address_space:  global
        .offset:         0
        .size:           8
        .value_kind:     global_buffer
      - .address_space:  global
        .offset:         8
        .size:           8
        .value_kind:     global_buffer
    .group_segment_fixed_size: 0
    .kernarg_segment_align: 8
    .kernarg_segment_size: 16
    .language:       OpenCL C
    .language_version:
      - 2
      - 0
    .max_flat_workgroup_size: 256
    .name:           _Z16warp_load_kernelILj256ELj8ELj32ELN6hipcub17WarpLoadAlgorithmE1EiEvPT3_S3_
    .private_segment_fixed_size: 0
    .sgpr_count:     11
    .sgpr_spill_count: 0
    .symbol:         _Z16warp_load_kernelILj256ELj8ELj32ELN6hipcub17WarpLoadAlgorithmE1EiEvPT3_S3_.kd
    .uniform_work_group_size: 1
    .uses_dynamic_stack: false
    .vgpr_count:     20
    .vgpr_spill_count: 0
    .wavefront_size: 64
  - .args:
      - .address_space:  global
        .offset:         0
        .size:           8
        .value_kind:     global_buffer
      - .address_space:  global
        .offset:         8
        .size:           8
        .value_kind:     global_buffer
    .group_segment_fixed_size: 0
    .kernarg_segment_align: 8
    .kernarg_segment_size: 16
    .language:       OpenCL C
    .language_version:
      - 2
      - 0
    .max_flat_workgroup_size: 256
    .name:           _Z16warp_load_kernelILj256ELj8ELj32ELN6hipcub17WarpLoadAlgorithmE2EiEvPT3_S3_
    .private_segment_fixed_size: 0
    .sgpr_count:     11
    .sgpr_spill_count: 0
    .symbol:         _Z16warp_load_kernelILj256ELj8ELj32ELN6hipcub17WarpLoadAlgorithmE2EiEvPT3_S3_.kd
    .uniform_work_group_size: 1
    .uses_dynamic_stack: false
    .vgpr_count:     19
    .vgpr_spill_count: 0
    .wavefront_size: 64
  - .args:
      - .address_space:  global
        .offset:         0
        .size:           8
        .value_kind:     global_buffer
      - .address_space:  global
        .offset:         8
        .size:           8
        .value_kind:     global_buffer
    .group_segment_fixed_size: 8192
    .kernarg_segment_align: 8
    .kernarg_segment_size: 16
    .language:       OpenCL C
    .language_version:
      - 2
      - 0
    .max_flat_workgroup_size: 256
    .name:           _Z16warp_load_kernelILj256ELj8ELj32ELN6hipcub17WarpLoadAlgorithmE3EiEvPT3_S3_
    .private_segment_fixed_size: 0
    .sgpr_count:     11
    .sgpr_spill_count: 0
    .symbol:         _Z16warp_load_kernelILj256ELj8ELj32ELN6hipcub17WarpLoadAlgorithmE3EiEvPT3_S3_.kd
    .uniform_work_group_size: 1
    .uses_dynamic_stack: false
    .vgpr_count:     29
    .vgpr_spill_count: 0
    .wavefront_size: 64
  - .args:
      - .address_space:  global
        .offset:         0
        .size:           8
        .value_kind:     global_buffer
      - .address_space:  global
        .offset:         8
        .size:           8
        .value_kind:     global_buffer
    .group_segment_fixed_size: 0
    .kernarg_segment_align: 8
    .kernarg_segment_size: 16
    .language:       OpenCL C
    .language_version:
      - 2
      - 0
    .max_flat_workgroup_size: 256
    .name:           _Z16warp_load_kernelILj256ELj16ELj32ELN6hipcub17WarpLoadAlgorithmE0EiEvPT3_S3_
    .private_segment_fixed_size: 0
    .sgpr_count:     11
    .sgpr_spill_count: 0
    .symbol:         _Z16warp_load_kernelILj256ELj16ELj32ELN6hipcub17WarpLoadAlgorithmE0EiEvPT3_S3_.kd
    .uniform_work_group_size: 1
    .uses_dynamic_stack: false
    .vgpr_count:     23
    .vgpr_spill_count: 0
    .wavefront_size: 64
  - .args:
      - .address_space:  global
        .offset:         0
        .size:           8
        .value_kind:     global_buffer
      - .address_space:  global
        .offset:         8
        .size:           8
        .value_kind:     global_buffer
    .group_segment_fixed_size: 0
    .kernarg_segment_align: 8
    .kernarg_segment_size: 16
    .language:       OpenCL C
    .language_version:
      - 2
      - 0
    .max_flat_workgroup_size: 256
    .name:           _Z16warp_load_kernelILj256ELj16ELj32ELN6hipcub17WarpLoadAlgorithmE1EiEvPT3_S3_
    .private_segment_fixed_size: 0
    .sgpr_count:     11
    .sgpr_spill_count: 0
    .symbol:         _Z16warp_load_kernelILj256ELj16ELj32ELN6hipcub17WarpLoadAlgorithmE1EiEvPT3_S3_.kd
    .uniform_work_group_size: 1
    .uses_dynamic_stack: false
    .vgpr_count:     30
    .vgpr_spill_count: 0
    .wavefront_size: 64
  - .args:
      - .address_space:  global
        .offset:         0
        .size:           8
        .value_kind:     global_buffer
      - .address_space:  global
        .offset:         8
        .size:           8
        .value_kind:     global_buffer
    .group_segment_fixed_size: 0
    .kernarg_segment_align: 8
    .kernarg_segment_size: 16
    .language:       OpenCL C
    .language_version:
      - 2
      - 0
    .max_flat_workgroup_size: 256
    .name:           _Z16warp_load_kernelILj256ELj16ELj32ELN6hipcub17WarpLoadAlgorithmE2EiEvPT3_S3_
    .private_segment_fixed_size: 0
    .sgpr_count:     11
    .sgpr_spill_count: 0
    .symbol:         _Z16warp_load_kernelILj256ELj16ELj32ELN6hipcub17WarpLoadAlgorithmE2EiEvPT3_S3_.kd
    .uniform_work_group_size: 1
    .uses_dynamic_stack: false
    .vgpr_count:     23
    .vgpr_spill_count: 0
    .wavefront_size: 64
  - .args:
      - .address_space:  global
        .offset:         0
        .size:           8
        .value_kind:     global_buffer
      - .address_space:  global
        .offset:         8
        .size:           8
        .value_kind:     global_buffer
    .group_segment_fixed_size: 16384
    .kernarg_segment_align: 8
    .kernarg_segment_size: 16
    .language:       OpenCL C
    .language_version:
      - 2
      - 0
    .max_flat_workgroup_size: 256
    .name:           _Z16warp_load_kernelILj256ELj16ELj32ELN6hipcub17WarpLoadAlgorithmE3EiEvPT3_S3_
    .private_segment_fixed_size: 0
    .sgpr_count:     11
    .sgpr_spill_count: 0
    .symbol:         _Z16warp_load_kernelILj256ELj16ELj32ELN6hipcub17WarpLoadAlgorithmE3EiEvPT3_S3_.kd
    .uniform_work_group_size: 1
    .uses_dynamic_stack: false
    .vgpr_count:     37
    .vgpr_spill_count: 0
    .wavefront_size: 64
  - .args:
      - .address_space:  global
        .offset:         0
        .size:           8
        .value_kind:     global_buffer
      - .address_space:  global
        .offset:         8
        .size:           8
        .value_kind:     global_buffer
    .group_segment_fixed_size: 0
    .kernarg_segment_align: 8
    .kernarg_segment_size: 16
    .language:       OpenCL C
    .language_version:
      - 2
      - 0
    .max_flat_workgroup_size: 256
    .name:           _Z16warp_load_kernelILj256ELj32ELj32ELN6hipcub17WarpLoadAlgorithmE0EiEvPT3_S3_
    .private_segment_fixed_size: 0
    .sgpr_count:     11
    .sgpr_spill_count: 0
    .symbol:         _Z16warp_load_kernelILj256ELj32ELj32ELN6hipcub17WarpLoadAlgorithmE0EiEvPT3_S3_.kd
    .uniform_work_group_size: 1
    .uses_dynamic_stack: false
    .vgpr_count:     39
    .vgpr_spill_count: 0
    .wavefront_size: 64
  - .args:
      - .address_space:  global
        .offset:         0
        .size:           8
        .value_kind:     global_buffer
      - .address_space:  global
        .offset:         8
        .size:           8
        .value_kind:     global_buffer
    .group_segment_fixed_size: 0
    .kernarg_segment_align: 8
    .kernarg_segment_size: 16
    .language:       OpenCL C
    .language_version:
      - 2
      - 0
    .max_flat_workgroup_size: 256
    .name:           _Z16warp_load_kernelILj256ELj32ELj32ELN6hipcub17WarpLoadAlgorithmE1EiEvPT3_S3_
    .private_segment_fixed_size: 0
    .sgpr_count:     11
    .sgpr_spill_count: 0
    .symbol:         _Z16warp_load_kernelILj256ELj32ELj32ELN6hipcub17WarpLoadAlgorithmE1EiEvPT3_S3_.kd
    .uniform_work_group_size: 1
    .uses_dynamic_stack: false
    .vgpr_count:     45
    .vgpr_spill_count: 0
    .wavefront_size: 64
  - .args:
      - .address_space:  global
        .offset:         0
        .size:           8
        .value_kind:     global_buffer
      - .address_space:  global
        .offset:         8
        .size:           8
        .value_kind:     global_buffer
    .group_segment_fixed_size: 0
    .kernarg_segment_align: 8
    .kernarg_segment_size: 16
    .language:       OpenCL C
    .language_version:
      - 2
      - 0
    .max_flat_workgroup_size: 256
    .name:           _Z16warp_load_kernelILj256ELj32ELj32ELN6hipcub17WarpLoadAlgorithmE2EiEvPT3_S3_
    .private_segment_fixed_size: 0
    .sgpr_count:     11
    .sgpr_spill_count: 0
    .symbol:         _Z16warp_load_kernelILj256ELj32ELj32ELN6hipcub17WarpLoadAlgorithmE2EiEvPT3_S3_.kd
    .uniform_work_group_size: 1
    .uses_dynamic_stack: false
    .vgpr_count:     39
    .vgpr_spill_count: 0
    .wavefront_size: 64
  - .args:
      - .address_space:  global
        .offset:         0
        .size:           8
        .value_kind:     global_buffer
      - .address_space:  global
        .offset:         8
        .size:           8
        .value_kind:     global_buffer
    .group_segment_fixed_size: 32768
    .kernarg_segment_align: 8
    .kernarg_segment_size: 16
    .language:       OpenCL C
    .language_version:
      - 2
      - 0
    .max_flat_workgroup_size: 256
    .name:           _Z16warp_load_kernelILj256ELj32ELj32ELN6hipcub17WarpLoadAlgorithmE3EiEvPT3_S3_
    .private_segment_fixed_size: 0
    .sgpr_count:     11
    .sgpr_spill_count: 0
    .symbol:         _Z16warp_load_kernelILj256ELj32ELj32ELN6hipcub17WarpLoadAlgorithmE3EiEvPT3_S3_.kd
    .uniform_work_group_size: 1
    .uses_dynamic_stack: false
    .vgpr_count:     43
    .vgpr_spill_count: 0
    .wavefront_size: 64
  - .args:
      - .address_space:  global
        .offset:         0
        .size:           8
        .value_kind:     global_buffer
      - .address_space:  global
        .offset:         8
        .size:           8
        .value_kind:     global_buffer
    .group_segment_fixed_size: 0
    .kernarg_segment_align: 8
    .kernarg_segment_size: 16
    .language:       OpenCL C
    .language_version:
      - 2
      - 0
    .max_flat_workgroup_size: 256
    .name:           _Z16warp_load_kernelILj256ELj64ELj32ELN6hipcub17WarpLoadAlgorithmE0EiEvPT3_S3_
    .private_segment_fixed_size: 0
    .sgpr_count:     11
    .sgpr_spill_count: 0
    .symbol:         _Z16warp_load_kernelILj256ELj64ELj32ELN6hipcub17WarpLoadAlgorithmE0EiEvPT3_S3_.kd
    .uniform_work_group_size: 1
    .uses_dynamic_stack: false
    .vgpr_count:     81
    .vgpr_spill_count: 0
    .wavefront_size: 64
  - .args:
      - .address_space:  global
        .offset:         0
        .size:           8
        .value_kind:     global_buffer
      - .address_space:  global
        .offset:         8
        .size:           8
        .value_kind:     global_buffer
    .group_segment_fixed_size: 0
    .kernarg_segment_align: 8
    .kernarg_segment_size: 16
    .language:       OpenCL C
    .language_version:
      - 2
      - 0
    .max_flat_workgroup_size: 256
    .name:           _Z16warp_load_kernelILj256ELj64ELj32ELN6hipcub17WarpLoadAlgorithmE1EiEvPT3_S3_
    .private_segment_fixed_size: 0
    .sgpr_count:     11
    .sgpr_spill_count: 0
    .symbol:         _Z16warp_load_kernelILj256ELj64ELj32ELN6hipcub17WarpLoadAlgorithmE1EiEvPT3_S3_.kd
    .uniform_work_group_size: 1
    .uses_dynamic_stack: false
    .vgpr_count:     70
    .vgpr_spill_count: 0
    .wavefront_size: 64
  - .args:
      - .address_space:  global
        .offset:         0
        .size:           8
        .value_kind:     global_buffer
      - .address_space:  global
        .offset:         8
        .size:           8
        .value_kind:     global_buffer
    .group_segment_fixed_size: 0
    .kernarg_segment_align: 8
    .kernarg_segment_size: 16
    .language:       OpenCL C
    .language_version:
      - 2
      - 0
    .max_flat_workgroup_size: 256
    .name:           _Z16warp_load_kernelILj256ELj64ELj32ELN6hipcub17WarpLoadAlgorithmE2EiEvPT3_S3_
    .private_segment_fixed_size: 0
    .sgpr_count:     11
    .sgpr_spill_count: 0
    .symbol:         _Z16warp_load_kernelILj256ELj64ELj32ELN6hipcub17WarpLoadAlgorithmE2EiEvPT3_S3_.kd
    .uniform_work_group_size: 1
    .uses_dynamic_stack: false
    .vgpr_count:     81
    .vgpr_spill_count: 0
    .wavefront_size: 64
  - .args:
      - .address_space:  global
        .offset:         0
        .size:           8
        .value_kind:     global_buffer
      - .address_space:  global
        .offset:         8
        .size:           8
        .value_kind:     global_buffer
    .group_segment_fixed_size: 0
    .kernarg_segment_align: 8
    .kernarg_segment_size: 16
    .language:       OpenCL C
    .language_version:
      - 2
      - 0
    .max_flat_workgroup_size: 256
    .name:           _Z16warp_load_kernelILj256ELj4ELj32ELN6hipcub17WarpLoadAlgorithmE0EdEvPT3_S3_
    .private_segment_fixed_size: 0
    .sgpr_count:     11
    .sgpr_spill_count: 0
    .symbol:         _Z16warp_load_kernelILj256ELj4ELj32ELN6hipcub17WarpLoadAlgorithmE0EdEvPT3_S3_.kd
    .uniform_work_group_size: 1
    .uses_dynamic_stack: false
    .vgpr_count:     18
    .vgpr_spill_count: 0
    .wavefront_size: 64
  - .args:
      - .address_space:  global
        .offset:         0
        .size:           8
        .value_kind:     global_buffer
      - .address_space:  global
        .offset:         8
        .size:           8
        .value_kind:     global_buffer
    .group_segment_fixed_size: 0
    .kernarg_segment_align: 8
    .kernarg_segment_size: 16
    .language:       OpenCL C
    .language_version:
      - 2
      - 0
    .max_flat_workgroup_size: 256
    .name:           _Z16warp_load_kernelILj256ELj4ELj32ELN6hipcub17WarpLoadAlgorithmE1EdEvPT3_S3_
    .private_segment_fixed_size: 0
    .sgpr_count:     11
    .sgpr_spill_count: 0
    .symbol:         _Z16warp_load_kernelILj256ELj4ELj32ELN6hipcub17WarpLoadAlgorithmE1EdEvPT3_S3_.kd
    .uniform_work_group_size: 1
    .uses_dynamic_stack: false
    .vgpr_count:     19
    .vgpr_spill_count: 0
    .wavefront_size: 64
  - .args:
      - .address_space:  global
        .offset:         0
        .size:           8
        .value_kind:     global_buffer
      - .address_space:  global
        .offset:         8
        .size:           8
        .value_kind:     global_buffer
    .group_segment_fixed_size: 0
    .kernarg_segment_align: 8
    .kernarg_segment_size: 16
    .language:       OpenCL C
    .language_version:
      - 2
      - 0
    .max_flat_workgroup_size: 256
    .name:           _Z16warp_load_kernelILj256ELj4ELj32ELN6hipcub17WarpLoadAlgorithmE2EdEvPT3_S3_
    .private_segment_fixed_size: 0
    .sgpr_count:     11
    .sgpr_spill_count: 0
    .symbol:         _Z16warp_load_kernelILj256ELj4ELj32ELN6hipcub17WarpLoadAlgorithmE2EdEvPT3_S3_.kd
    .uniform_work_group_size: 1
    .uses_dynamic_stack: false
    .vgpr_count:     18
    .vgpr_spill_count: 0
    .wavefront_size: 64
  - .args:
      - .address_space:  global
        .offset:         0
        .size:           8
        .value_kind:     global_buffer
      - .address_space:  global
        .offset:         8
        .size:           8
        .value_kind:     global_buffer
    .group_segment_fixed_size: 8192
    .kernarg_segment_align: 8
    .kernarg_segment_size: 16
    .language:       OpenCL C
    .language_version:
      - 2
      - 0
    .max_flat_workgroup_size: 256
    .name:           _Z16warp_load_kernelILj256ELj4ELj32ELN6hipcub17WarpLoadAlgorithmE3EdEvPT3_S3_
    .private_segment_fixed_size: 0
    .sgpr_count:     11
    .sgpr_spill_count: 0
    .symbol:         _Z16warp_load_kernelILj256ELj4ELj32ELN6hipcub17WarpLoadAlgorithmE3EdEvPT3_S3_.kd
    .uniform_work_group_size: 1
    .uses_dynamic_stack: false
    .vgpr_count:     24
    .vgpr_spill_count: 0
    .wavefront_size: 64
  - .args:
      - .address_space:  global
        .offset:         0
        .size:           8
        .value_kind:     global_buffer
      - .address_space:  global
        .offset:         8
        .size:           8
        .value_kind:     global_buffer
    .group_segment_fixed_size: 0
    .kernarg_segment_align: 8
    .kernarg_segment_size: 16
    .language:       OpenCL C
    .language_version:
      - 2
      - 0
    .max_flat_workgroup_size: 256
    .name:           _Z16warp_load_kernelILj256ELj8ELj32ELN6hipcub17WarpLoadAlgorithmE0EdEvPT3_S3_
    .private_segment_fixed_size: 0
    .sgpr_count:     11
    .sgpr_spill_count: 0
    .symbol:         _Z16warp_load_kernelILj256ELj8ELj32ELN6hipcub17WarpLoadAlgorithmE0EdEvPT3_S3_.kd
    .uniform_work_group_size: 1
    .uses_dynamic_stack: false
    .vgpr_count:     23
    .vgpr_spill_count: 0
    .wavefront_size: 64
  - .args:
      - .address_space:  global
        .offset:         0
        .size:           8
        .value_kind:     global_buffer
      - .address_space:  global
        .offset:         8
        .size:           8
        .value_kind:     global_buffer
    .group_segment_fixed_size: 0
    .kernarg_segment_align: 8
    .kernarg_segment_size: 16
    .language:       OpenCL C
    .language_version:
      - 2
      - 0
    .max_flat_workgroup_size: 256
    .name:           _Z16warp_load_kernelILj256ELj8ELj32ELN6hipcub17WarpLoadAlgorithmE1EdEvPT3_S3_
    .private_segment_fixed_size: 0
    .sgpr_count:     11
    .sgpr_spill_count: 0
    .symbol:         _Z16warp_load_kernelILj256ELj8ELj32ELN6hipcub17WarpLoadAlgorithmE1EdEvPT3_S3_.kd
    .uniform_work_group_size: 1
    .uses_dynamic_stack: false
    .vgpr_count:     25
    .vgpr_spill_count: 0
    .wavefront_size: 64
  - .args:
      - .address_space:  global
        .offset:         0
        .size:           8
        .value_kind:     global_buffer
      - .address_space:  global
        .offset:         8
        .size:           8
        .value_kind:     global_buffer
    .group_segment_fixed_size: 0
    .kernarg_segment_align: 8
    .kernarg_segment_size: 16
    .language:       OpenCL C
    .language_version:
      - 2
      - 0
    .max_flat_workgroup_size: 256
    .name:           _Z16warp_load_kernelILj256ELj8ELj32ELN6hipcub17WarpLoadAlgorithmE2EdEvPT3_S3_
    .private_segment_fixed_size: 0
    .sgpr_count:     11
    .sgpr_spill_count: 0
    .symbol:         _Z16warp_load_kernelILj256ELj8ELj32ELN6hipcub17WarpLoadAlgorithmE2EdEvPT3_S3_.kd
    .uniform_work_group_size: 1
    .uses_dynamic_stack: false
    .vgpr_count:     23
    .vgpr_spill_count: 0
    .wavefront_size: 64
  - .args:
      - .address_space:  global
        .offset:         0
        .size:           8
        .value_kind:     global_buffer
      - .address_space:  global
        .offset:         8
        .size:           8
        .value_kind:     global_buffer
    .group_segment_fixed_size: 16384
    .kernarg_segment_align: 8
    .kernarg_segment_size: 16
    .language:       OpenCL C
    .language_version:
      - 2
      - 0
    .max_flat_workgroup_size: 256
    .name:           _Z16warp_load_kernelILj256ELj8ELj32ELN6hipcub17WarpLoadAlgorithmE3EdEvPT3_S3_
    .private_segment_fixed_size: 0
    .sgpr_count:     11
    .sgpr_spill_count: 0
    .symbol:         _Z16warp_load_kernelILj256ELj8ELj32ELN6hipcub17WarpLoadAlgorithmE3EdEvPT3_S3_.kd
    .uniform_work_group_size: 1
    .uses_dynamic_stack: false
    .vgpr_count:     38
    .vgpr_spill_count: 0
    .wavefront_size: 64
  - .args:
      - .address_space:  global
        .offset:         0
        .size:           8
        .value_kind:     global_buffer
      - .address_space:  global
        .offset:         8
        .size:           8
        .value_kind:     global_buffer
    .group_segment_fixed_size: 0
    .kernarg_segment_align: 8
    .kernarg_segment_size: 16
    .language:       OpenCL C
    .language_version:
      - 2
      - 0
    .max_flat_workgroup_size: 256
    .name:           _Z16warp_load_kernelILj256ELj16ELj32ELN6hipcub17WarpLoadAlgorithmE0EdEvPT3_S3_
    .private_segment_fixed_size: 0
    .sgpr_count:     11
    .sgpr_spill_count: 0
    .symbol:         _Z16warp_load_kernelILj256ELj16ELj32ELN6hipcub17WarpLoadAlgorithmE0EdEvPT3_S3_.kd
    .uniform_work_group_size: 1
    .uses_dynamic_stack: false
    .vgpr_count:     39
    .vgpr_spill_count: 0
    .wavefront_size: 64
  - .args:
      - .address_space:  global
        .offset:         0
        .size:           8
        .value_kind:     global_buffer
      - .address_space:  global
        .offset:         8
        .size:           8
        .value_kind:     global_buffer
    .group_segment_fixed_size: 0
    .kernarg_segment_align: 8
    .kernarg_segment_size: 16
    .language:       OpenCL C
    .language_version:
      - 2
      - 0
    .max_flat_workgroup_size: 256
    .name:           _Z16warp_load_kernelILj256ELj16ELj32ELN6hipcub17WarpLoadAlgorithmE1EdEvPT3_S3_
    .private_segment_fixed_size: 0
    .sgpr_count:     11
    .sgpr_spill_count: 0
    .symbol:         _Z16warp_load_kernelILj256ELj16ELj32ELN6hipcub17WarpLoadAlgorithmE1EdEvPT3_S3_.kd
    .uniform_work_group_size: 1
    .uses_dynamic_stack: false
    .vgpr_count:     41
    .vgpr_spill_count: 0
    .wavefront_size: 64
  - .args:
      - .address_space:  global
        .offset:         0
        .size:           8
        .value_kind:     global_buffer
      - .address_space:  global
        .offset:         8
        .size:           8
        .value_kind:     global_buffer
    .group_segment_fixed_size: 0
    .kernarg_segment_align: 8
    .kernarg_segment_size: 16
    .language:       OpenCL C
    .language_version:
      - 2
      - 0
    .max_flat_workgroup_size: 256
    .name:           _Z16warp_load_kernelILj256ELj16ELj32ELN6hipcub17WarpLoadAlgorithmE2EdEvPT3_S3_
    .private_segment_fixed_size: 0
    .sgpr_count:     11
    .sgpr_spill_count: 0
    .symbol:         _Z16warp_load_kernelILj256ELj16ELj32ELN6hipcub17WarpLoadAlgorithmE2EdEvPT3_S3_.kd
    .uniform_work_group_size: 1
    .uses_dynamic_stack: false
    .vgpr_count:     39
    .vgpr_spill_count: 0
    .wavefront_size: 64
  - .args:
      - .address_space:  global
        .offset:         0
        .size:           8
        .value_kind:     global_buffer
      - .address_space:  global
        .offset:         8
        .size:           8
        .value_kind:     global_buffer
    .group_segment_fixed_size: 32768
    .kernarg_segment_align: 8
    .kernarg_segment_size: 16
    .language:       OpenCL C
    .language_version:
      - 2
      - 0
    .max_flat_workgroup_size: 256
    .name:           _Z16warp_load_kernelILj256ELj16ELj32ELN6hipcub17WarpLoadAlgorithmE3EdEvPT3_S3_
    .private_segment_fixed_size: 0
    .sgpr_count:     11
    .sgpr_spill_count: 0
    .symbol:         _Z16warp_load_kernelILj256ELj16ELj32ELN6hipcub17WarpLoadAlgorithmE3EdEvPT3_S3_.kd
    .uniform_work_group_size: 1
    .uses_dynamic_stack: false
    .vgpr_count:     49
    .vgpr_spill_count: 0
    .wavefront_size: 64
  - .args:
      - .address_space:  global
        .offset:         0
        .size:           8
        .value_kind:     global_buffer
      - .address_space:  global
        .offset:         8
        .size:           8
        .value_kind:     global_buffer
    .group_segment_fixed_size: 0
    .kernarg_segment_align: 8
    .kernarg_segment_size: 16
    .language:       OpenCL C
    .language_version:
      - 2
      - 0
    .max_flat_workgroup_size: 256
    .name:           _Z16warp_load_kernelILj256ELj32ELj32ELN6hipcub17WarpLoadAlgorithmE0EdEvPT3_S3_
    .private_segment_fixed_size: 0
    .sgpr_count:     11
    .sgpr_spill_count: 0
    .symbol:         _Z16warp_load_kernelILj256ELj32ELj32ELN6hipcub17WarpLoadAlgorithmE0EdEvPT3_S3_.kd
    .uniform_work_group_size: 1
    .uses_dynamic_stack: false
    .vgpr_count:     82
    .vgpr_spill_count: 0
    .wavefront_size: 64
  - .args:
      - .address_space:  global
        .offset:         0
        .size:           8
        .value_kind:     global_buffer
      - .address_space:  global
        .offset:         8
        .size:           8
        .value_kind:     global_buffer
    .group_segment_fixed_size: 0
    .kernarg_segment_align: 8
    .kernarg_segment_size: 16
    .language:       OpenCL C
    .language_version:
      - 2
      - 0
    .max_flat_workgroup_size: 256
    .name:           _Z16warp_load_kernelILj256ELj32ELj32ELN6hipcub17WarpLoadAlgorithmE1EdEvPT3_S3_
    .private_segment_fixed_size: 0
    .sgpr_count:     11
    .sgpr_spill_count: 0
    .symbol:         _Z16warp_load_kernelILj256ELj32ELj32ELN6hipcub17WarpLoadAlgorithmE1EdEvPT3_S3_.kd
    .uniform_work_group_size: 1
    .uses_dynamic_stack: false
    .vgpr_count:     77
    .vgpr_spill_count: 0
    .wavefront_size: 64
  - .args:
      - .address_space:  global
        .offset:         0
        .size:           8
        .value_kind:     global_buffer
      - .address_space:  global
        .offset:         8
        .size:           8
        .value_kind:     global_buffer
    .group_segment_fixed_size: 0
    .kernarg_segment_align: 8
    .kernarg_segment_size: 16
    .language:       OpenCL C
    .language_version:
      - 2
      - 0
    .max_flat_workgroup_size: 256
    .name:           _Z16warp_load_kernelILj256ELj32ELj32ELN6hipcub17WarpLoadAlgorithmE2EdEvPT3_S3_
    .private_segment_fixed_size: 0
    .sgpr_count:     11
    .sgpr_spill_count: 0
    .symbol:         _Z16warp_load_kernelILj256ELj32ELj32ELN6hipcub17WarpLoadAlgorithmE2EdEvPT3_S3_.kd
    .uniform_work_group_size: 1
    .uses_dynamic_stack: false
    .vgpr_count:     82
    .vgpr_spill_count: 0
    .wavefront_size: 64
  - .args:
      - .address_space:  global
        .offset:         0
        .size:           8
        .value_kind:     global_buffer
      - .address_space:  global
        .offset:         8
        .size:           8
        .value_kind:     global_buffer
    .group_segment_fixed_size: 0
    .kernarg_segment_align: 8
    .kernarg_segment_size: 16
    .language:       OpenCL C
    .language_version:
      - 2
      - 0
    .max_flat_workgroup_size: 256
    .name:           _Z16warp_load_kernelILj256ELj64ELj32ELN6hipcub17WarpLoadAlgorithmE0EdEvPT3_S3_
    .private_segment_fixed_size: 0
    .sgpr_count:     11
    .sgpr_spill_count: 0
    .symbol:         _Z16warp_load_kernelILj256ELj64ELj32ELN6hipcub17WarpLoadAlgorithmE0EdEvPT3_S3_.kd
    .uniform_work_group_size: 1
    .uses_dynamic_stack: false
    .vgpr_count:     138
    .vgpr_spill_count: 0
    .wavefront_size: 64
  - .args:
      - .address_space:  global
        .offset:         0
        .size:           8
        .value_kind:     global_buffer
      - .address_space:  global
        .offset:         8
        .size:           8
        .value_kind:     global_buffer
    .group_segment_fixed_size: 0
    .kernarg_segment_align: 8
    .kernarg_segment_size: 16
    .language:       OpenCL C
    .language_version:
      - 2
      - 0
    .max_flat_workgroup_size: 256
    .name:           _Z16warp_load_kernelILj256ELj64ELj32ELN6hipcub17WarpLoadAlgorithmE1EdEvPT3_S3_
    .private_segment_fixed_size: 0
    .sgpr_count:     11
    .sgpr_spill_count: 0
    .symbol:         _Z16warp_load_kernelILj256ELj64ELj32ELN6hipcub17WarpLoadAlgorithmE1EdEvPT3_S3_.kd
    .uniform_work_group_size: 1
    .uses_dynamic_stack: false
    .vgpr_count:     135
    .vgpr_spill_count: 0
    .wavefront_size: 64
  - .args:
      - .address_space:  global
        .offset:         0
        .size:           8
        .value_kind:     global_buffer
      - .address_space:  global
        .offset:         8
        .size:           8
        .value_kind:     global_buffer
    .group_segment_fixed_size: 0
    .kernarg_segment_align: 8
    .kernarg_segment_size: 16
    .language:       OpenCL C
    .language_version:
      - 2
      - 0
    .max_flat_workgroup_size: 256
    .name:           _Z16warp_load_kernelILj256ELj64ELj32ELN6hipcub17WarpLoadAlgorithmE2EdEvPT3_S3_
    .private_segment_fixed_size: 0
    .sgpr_count:     11
    .sgpr_spill_count: 0
    .symbol:         _Z16warp_load_kernelILj256ELj64ELj32ELN6hipcub17WarpLoadAlgorithmE2EdEvPT3_S3_.kd
    .uniform_work_group_size: 1
    .uses_dynamic_stack: false
    .vgpr_count:     138
    .vgpr_spill_count: 0
    .wavefront_size: 64
  - .args:
      - .address_space:  global
        .offset:         0
        .size:           8
        .value_kind:     global_buffer
      - .address_space:  global
        .offset:         8
        .size:           8
        .value_kind:     global_buffer
    .group_segment_fixed_size: 0
    .kernarg_segment_align: 8
    .kernarg_segment_size: 16
    .language:       OpenCL C
    .language_version:
      - 2
      - 0
    .max_flat_workgroup_size: 256
    .name:           _Z16warp_load_kernelILj256ELj4ELj64ELN6hipcub17WarpLoadAlgorithmE0EiEvPT3_S3_
    .private_segment_fixed_size: 0
    .sgpr_count:     11
    .sgpr_spill_count: 0
    .symbol:         _Z16warp_load_kernelILj256ELj4ELj64ELN6hipcub17WarpLoadAlgorithmE0EiEvPT3_S3_.kd
    .uniform_work_group_size: 1
    .uses_dynamic_stack: false
    .vgpr_count:     16
    .vgpr_spill_count: 0
    .wavefront_size: 64
  - .args:
      - .address_space:  global
        .offset:         0
        .size:           8
        .value_kind:     global_buffer
      - .address_space:  global
        .offset:         8
        .size:           8
        .value_kind:     global_buffer
    .group_segment_fixed_size: 0
    .kernarg_segment_align: 8
    .kernarg_segment_size: 16
    .language:       OpenCL C
    .language_version:
      - 2
      - 0
    .max_flat_workgroup_size: 256
    .name:           _Z16warp_load_kernelILj256ELj4ELj64ELN6hipcub17WarpLoadAlgorithmE1EiEvPT3_S3_
    .private_segment_fixed_size: 0
    .sgpr_count:     11
    .sgpr_spill_count: 0
    .symbol:         _Z16warp_load_kernelILj256ELj4ELj64ELN6hipcub17WarpLoadAlgorithmE1EiEvPT3_S3_.kd
    .uniform_work_group_size: 1
    .uses_dynamic_stack: false
    .vgpr_count:     17
    .vgpr_spill_count: 0
    .wavefront_size: 64
  - .args:
      - .address_space:  global
        .offset:         0
        .size:           8
        .value_kind:     global_buffer
      - .address_space:  global
        .offset:         8
        .size:           8
        .value_kind:     global_buffer
    .group_segment_fixed_size: 0
    .kernarg_segment_align: 8
    .kernarg_segment_size: 16
    .language:       OpenCL C
    .language_version:
      - 2
      - 0
    .max_flat_workgroup_size: 256
    .name:           _Z16warp_load_kernelILj256ELj4ELj64ELN6hipcub17WarpLoadAlgorithmE2EiEvPT3_S3_
    .private_segment_fixed_size: 0
    .sgpr_count:     11
    .sgpr_spill_count: 0
    .symbol:         _Z16warp_load_kernelILj256ELj4ELj64ELN6hipcub17WarpLoadAlgorithmE2EiEvPT3_S3_.kd
    .uniform_work_group_size: 1
    .uses_dynamic_stack: false
    .vgpr_count:     16
    .vgpr_spill_count: 0
    .wavefront_size: 64
  - .args:
      - .address_space:  global
        .offset:         0
        .size:           8
        .value_kind:     global_buffer
      - .address_space:  global
        .offset:         8
        .size:           8
        .value_kind:     global_buffer
    .group_segment_fixed_size: 4096
    .kernarg_segment_align: 8
    .kernarg_segment_size: 16
    .language:       OpenCL C
    .language_version:
      - 2
      - 0
    .max_flat_workgroup_size: 256
    .name:           _Z16warp_load_kernelILj256ELj4ELj64ELN6hipcub17WarpLoadAlgorithmE3EiEvPT3_S3_
    .private_segment_fixed_size: 0
    .sgpr_count:     11
    .sgpr_spill_count: 0
    .symbol:         _Z16warp_load_kernelILj256ELj4ELj64ELN6hipcub17WarpLoadAlgorithmE3EiEvPT3_S3_.kd
    .uniform_work_group_size: 1
    .uses_dynamic_stack: false
    .vgpr_count:     20
    .vgpr_spill_count: 0
    .wavefront_size: 64
  - .args:
      - .address_space:  global
        .offset:         0
        .size:           8
        .value_kind:     global_buffer
      - .address_space:  global
        .offset:         8
        .size:           8
        .value_kind:     global_buffer
    .group_segment_fixed_size: 0
    .kernarg_segment_align: 8
    .kernarg_segment_size: 16
    .language:       OpenCL C
    .language_version:
      - 2
      - 0
    .max_flat_workgroup_size: 256
    .name:           _Z16warp_load_kernelILj256ELj8ELj64ELN6hipcub17WarpLoadAlgorithmE0EiEvPT3_S3_
    .private_segment_fixed_size: 0
    .sgpr_count:     11
    .sgpr_spill_count: 0
    .symbol:         _Z16warp_load_kernelILj256ELj8ELj64ELN6hipcub17WarpLoadAlgorithmE0EiEvPT3_S3_.kd
    .uniform_work_group_size: 1
    .uses_dynamic_stack: false
    .vgpr_count:     19
    .vgpr_spill_count: 0
    .wavefront_size: 64
  - .args:
      - .address_space:  global
        .offset:         0
        .size:           8
        .value_kind:     global_buffer
      - .address_space:  global
        .offset:         8
        .size:           8
        .value_kind:     global_buffer
    .group_segment_fixed_size: 0
    .kernarg_segment_align: 8
    .kernarg_segment_size: 16
    .language:       OpenCL C
    .language_version:
      - 2
      - 0
    .max_flat_workgroup_size: 256
    .name:           _Z16warp_load_kernelILj256ELj8ELj64ELN6hipcub17WarpLoadAlgorithmE1EiEvPT3_S3_
    .private_segment_fixed_size: 0
    .sgpr_count:     11
    .sgpr_spill_count: 0
    .symbol:         _Z16warp_load_kernelILj256ELj8ELj64ELN6hipcub17WarpLoadAlgorithmE1EiEvPT3_S3_.kd
    .uniform_work_group_size: 1
    .uses_dynamic_stack: false
    .vgpr_count:     20
    .vgpr_spill_count: 0
    .wavefront_size: 64
  - .args:
      - .address_space:  global
        .offset:         0
        .size:           8
        .value_kind:     global_buffer
      - .address_space:  global
        .offset:         8
        .size:           8
        .value_kind:     global_buffer
    .group_segment_fixed_size: 0
    .kernarg_segment_align: 8
    .kernarg_segment_size: 16
    .language:       OpenCL C
    .language_version:
      - 2
      - 0
    .max_flat_workgroup_size: 256
    .name:           _Z16warp_load_kernelILj256ELj8ELj64ELN6hipcub17WarpLoadAlgorithmE2EiEvPT3_S3_
    .private_segment_fixed_size: 0
    .sgpr_count:     11
    .sgpr_spill_count: 0
    .symbol:         _Z16warp_load_kernelILj256ELj8ELj64ELN6hipcub17WarpLoadAlgorithmE2EiEvPT3_S3_.kd
    .uniform_work_group_size: 1
    .uses_dynamic_stack: false
    .vgpr_count:     19
    .vgpr_spill_count: 0
    .wavefront_size: 64
  - .args:
      - .address_space:  global
        .offset:         0
        .size:           8
        .value_kind:     global_buffer
      - .address_space:  global
        .offset:         8
        .size:           8
        .value_kind:     global_buffer
    .group_segment_fixed_size: 8192
    .kernarg_segment_align: 8
    .kernarg_segment_size: 16
    .language:       OpenCL C
    .language_version:
      - 2
      - 0
    .max_flat_workgroup_size: 256
    .name:           _Z16warp_load_kernelILj256ELj8ELj64ELN6hipcub17WarpLoadAlgorithmE3EiEvPT3_S3_
    .private_segment_fixed_size: 0
    .sgpr_count:     11
    .sgpr_spill_count: 0
    .symbol:         _Z16warp_load_kernelILj256ELj8ELj64ELN6hipcub17WarpLoadAlgorithmE3EiEvPT3_S3_.kd
    .uniform_work_group_size: 1
    .uses_dynamic_stack: false
    .vgpr_count:     30
    .vgpr_spill_count: 0
    .wavefront_size: 64
  - .args:
      - .address_space:  global
        .offset:         0
        .size:           8
        .value_kind:     global_buffer
      - .address_space:  global
        .offset:         8
        .size:           8
        .value_kind:     global_buffer
    .group_segment_fixed_size: 0
    .kernarg_segment_align: 8
    .kernarg_segment_size: 16
    .language:       OpenCL C
    .language_version:
      - 2
      - 0
    .max_flat_workgroup_size: 256
    .name:           _Z16warp_load_kernelILj256ELj16ELj64ELN6hipcub17WarpLoadAlgorithmE0EiEvPT3_S3_
    .private_segment_fixed_size: 0
    .sgpr_count:     11
    .sgpr_spill_count: 0
    .symbol:         _Z16warp_load_kernelILj256ELj16ELj64ELN6hipcub17WarpLoadAlgorithmE0EiEvPT3_S3_.kd
    .uniform_work_group_size: 1
    .uses_dynamic_stack: false
    .vgpr_count:     23
    .vgpr_spill_count: 0
    .wavefront_size: 64
  - .args:
      - .address_space:  global
        .offset:         0
        .size:           8
        .value_kind:     global_buffer
      - .address_space:  global
        .offset:         8
        .size:           8
        .value_kind:     global_buffer
    .group_segment_fixed_size: 0
    .kernarg_segment_align: 8
    .kernarg_segment_size: 16
    .language:       OpenCL C
    .language_version:
      - 2
      - 0
    .max_flat_workgroup_size: 256
    .name:           _Z16warp_load_kernelILj256ELj16ELj64ELN6hipcub17WarpLoadAlgorithmE1EiEvPT3_S3_
    .private_segment_fixed_size: 0
    .sgpr_count:     11
    .sgpr_spill_count: 0
    .symbol:         _Z16warp_load_kernelILj256ELj16ELj64ELN6hipcub17WarpLoadAlgorithmE1EiEvPT3_S3_.kd
    .uniform_work_group_size: 1
    .uses_dynamic_stack: false
    .vgpr_count:     30
    .vgpr_spill_count: 0
    .wavefront_size: 64
  - .args:
      - .address_space:  global
        .offset:         0
        .size:           8
        .value_kind:     global_buffer
      - .address_space:  global
        .offset:         8
        .size:           8
        .value_kind:     global_buffer
    .group_segment_fixed_size: 0
    .kernarg_segment_align: 8
    .kernarg_segment_size: 16
    .language:       OpenCL C
    .language_version:
      - 2
      - 0
    .max_flat_workgroup_size: 256
    .name:           _Z16warp_load_kernelILj256ELj16ELj64ELN6hipcub17WarpLoadAlgorithmE2EiEvPT3_S3_
    .private_segment_fixed_size: 0
    .sgpr_count:     11
    .sgpr_spill_count: 0
    .symbol:         _Z16warp_load_kernelILj256ELj16ELj64ELN6hipcub17WarpLoadAlgorithmE2EiEvPT3_S3_.kd
    .uniform_work_group_size: 1
    .uses_dynamic_stack: false
    .vgpr_count:     23
    .vgpr_spill_count: 0
    .wavefront_size: 64
  - .args:
      - .address_space:  global
        .offset:         0
        .size:           8
        .value_kind:     global_buffer
      - .address_space:  global
        .offset:         8
        .size:           8
        .value_kind:     global_buffer
    .group_segment_fixed_size: 16384
    .kernarg_segment_align: 8
    .kernarg_segment_size: 16
    .language:       OpenCL C
    .language_version:
      - 2
      - 0
    .max_flat_workgroup_size: 256
    .name:           _Z16warp_load_kernelILj256ELj16ELj64ELN6hipcub17WarpLoadAlgorithmE3EiEvPT3_S3_
    .private_segment_fixed_size: 0
    .sgpr_count:     11
    .sgpr_spill_count: 0
    .symbol:         _Z16warp_load_kernelILj256ELj16ELj64ELN6hipcub17WarpLoadAlgorithmE3EiEvPT3_S3_.kd
    .uniform_work_group_size: 1
    .uses_dynamic_stack: false
    .vgpr_count:     37
    .vgpr_spill_count: 0
    .wavefront_size: 64
  - .args:
      - .address_space:  global
        .offset:         0
        .size:           8
        .value_kind:     global_buffer
      - .address_space:  global
        .offset:         8
        .size:           8
        .value_kind:     global_buffer
    .group_segment_fixed_size: 0
    .kernarg_segment_align: 8
    .kernarg_segment_size: 16
    .language:       OpenCL C
    .language_version:
      - 2
      - 0
    .max_flat_workgroup_size: 256
    .name:           _Z16warp_load_kernelILj256ELj32ELj64ELN6hipcub17WarpLoadAlgorithmE0EiEvPT3_S3_
    .private_segment_fixed_size: 0
    .sgpr_count:     11
    .sgpr_spill_count: 0
    .symbol:         _Z16warp_load_kernelILj256ELj32ELj64ELN6hipcub17WarpLoadAlgorithmE0EiEvPT3_S3_.kd
    .uniform_work_group_size: 1
    .uses_dynamic_stack: false
    .vgpr_count:     39
    .vgpr_spill_count: 0
    .wavefront_size: 64
  - .args:
      - .address_space:  global
        .offset:         0
        .size:           8
        .value_kind:     global_buffer
      - .address_space:  global
        .offset:         8
        .size:           8
        .value_kind:     global_buffer
    .group_segment_fixed_size: 0
    .kernarg_segment_align: 8
    .kernarg_segment_size: 16
    .language:       OpenCL C
    .language_version:
      - 2
      - 0
    .max_flat_workgroup_size: 256
    .name:           _Z16warp_load_kernelILj256ELj32ELj64ELN6hipcub17WarpLoadAlgorithmE1EiEvPT3_S3_
    .private_segment_fixed_size: 0
    .sgpr_count:     11
    .sgpr_spill_count: 0
    .symbol:         _Z16warp_load_kernelILj256ELj32ELj64ELN6hipcub17WarpLoadAlgorithmE1EiEvPT3_S3_.kd
    .uniform_work_group_size: 1
    .uses_dynamic_stack: false
    .vgpr_count:     42
    .vgpr_spill_count: 0
    .wavefront_size: 64
  - .args:
      - .address_space:  global
        .offset:         0
        .size:           8
        .value_kind:     global_buffer
      - .address_space:  global
        .offset:         8
        .size:           8
        .value_kind:     global_buffer
    .group_segment_fixed_size: 0
    .kernarg_segment_align: 8
    .kernarg_segment_size: 16
    .language:       OpenCL C
    .language_version:
      - 2
      - 0
    .max_flat_workgroup_size: 256
    .name:           _Z16warp_load_kernelILj256ELj32ELj64ELN6hipcub17WarpLoadAlgorithmE2EiEvPT3_S3_
    .private_segment_fixed_size: 0
    .sgpr_count:     11
    .sgpr_spill_count: 0
    .symbol:         _Z16warp_load_kernelILj256ELj32ELj64ELN6hipcub17WarpLoadAlgorithmE2EiEvPT3_S3_.kd
    .uniform_work_group_size: 1
    .uses_dynamic_stack: false
    .vgpr_count:     39
    .vgpr_spill_count: 0
    .wavefront_size: 64
  - .args:
      - .address_space:  global
        .offset:         0
        .size:           8
        .value_kind:     global_buffer
      - .address_space:  global
        .offset:         8
        .size:           8
        .value_kind:     global_buffer
    .group_segment_fixed_size: 32768
    .kernarg_segment_align: 8
    .kernarg_segment_size: 16
    .language:       OpenCL C
    .language_version:
      - 2
      - 0
    .max_flat_workgroup_size: 256
    .name:           _Z16warp_load_kernelILj256ELj32ELj64ELN6hipcub17WarpLoadAlgorithmE3EiEvPT3_S3_
    .private_segment_fixed_size: 0
    .sgpr_count:     11
    .sgpr_spill_count: 0
    .symbol:         _Z16warp_load_kernelILj256ELj32ELj64ELN6hipcub17WarpLoadAlgorithmE3EiEvPT3_S3_.kd
    .uniform_work_group_size: 1
    .uses_dynamic_stack: false
    .vgpr_count:     39
    .vgpr_spill_count: 0
    .wavefront_size: 64
  - .args:
      - .address_space:  global
        .offset:         0
        .size:           8
        .value_kind:     global_buffer
      - .address_space:  global
        .offset:         8
        .size:           8
        .value_kind:     global_buffer
    .group_segment_fixed_size: 0
    .kernarg_segment_align: 8
    .kernarg_segment_size: 16
    .language:       OpenCL C
    .language_version:
      - 2
      - 0
    .max_flat_workgroup_size: 256
    .name:           _Z16warp_load_kernelILj256ELj64ELj64ELN6hipcub17WarpLoadAlgorithmE0EiEvPT3_S3_
    .private_segment_fixed_size: 0
    .sgpr_count:     11
    .sgpr_spill_count: 0
    .symbol:         _Z16warp_load_kernelILj256ELj64ELj64ELN6hipcub17WarpLoadAlgorithmE0EiEvPT3_S3_.kd
    .uniform_work_group_size: 1
    .uses_dynamic_stack: false
    .vgpr_count:     81
    .vgpr_spill_count: 0
    .wavefront_size: 64
  - .args:
      - .address_space:  global
        .offset:         0
        .size:           8
        .value_kind:     global_buffer
      - .address_space:  global
        .offset:         8
        .size:           8
        .value_kind:     global_buffer
    .group_segment_fixed_size: 0
    .kernarg_segment_align: 8
    .kernarg_segment_size: 16
    .language:       OpenCL C
    .language_version:
      - 2
      - 0
    .max_flat_workgroup_size: 256
    .name:           _Z16warp_load_kernelILj256ELj64ELj64ELN6hipcub17WarpLoadAlgorithmE1EiEvPT3_S3_
    .private_segment_fixed_size: 0
    .sgpr_count:     11
    .sgpr_spill_count: 0
    .symbol:         _Z16warp_load_kernelILj256ELj64ELj64ELN6hipcub17WarpLoadAlgorithmE1EiEvPT3_S3_.kd
    .uniform_work_group_size: 1
    .uses_dynamic_stack: false
    .vgpr_count:     72
    .vgpr_spill_count: 0
    .wavefront_size: 64
  - .args:
      - .address_space:  global
        .offset:         0
        .size:           8
        .value_kind:     global_buffer
      - .address_space:  global
        .offset:         8
        .size:           8
        .value_kind:     global_buffer
    .group_segment_fixed_size: 0
    .kernarg_segment_align: 8
    .kernarg_segment_size: 16
    .language:       OpenCL C
    .language_version:
      - 2
      - 0
    .max_flat_workgroup_size: 256
    .name:           _Z16warp_load_kernelILj256ELj64ELj64ELN6hipcub17WarpLoadAlgorithmE2EiEvPT3_S3_
    .private_segment_fixed_size: 0
    .sgpr_count:     11
    .sgpr_spill_count: 0
    .symbol:         _Z16warp_load_kernelILj256ELj64ELj64ELN6hipcub17WarpLoadAlgorithmE2EiEvPT3_S3_.kd
    .uniform_work_group_size: 1
    .uses_dynamic_stack: false
    .vgpr_count:     81
    .vgpr_spill_count: 0
    .wavefront_size: 64
  - .args:
      - .address_space:  global
        .offset:         0
        .size:           8
        .value_kind:     global_buffer
      - .address_space:  global
        .offset:         8
        .size:           8
        .value_kind:     global_buffer
    .group_segment_fixed_size: 0
    .kernarg_segment_align: 8
    .kernarg_segment_size: 16
    .language:       OpenCL C
    .language_version:
      - 2
      - 0
    .max_flat_workgroup_size: 256
    .name:           _Z16warp_load_kernelILj256ELj4ELj64ELN6hipcub17WarpLoadAlgorithmE0EdEvPT3_S3_
    .private_segment_fixed_size: 0
    .sgpr_count:     11
    .sgpr_spill_count: 0
    .symbol:         _Z16warp_load_kernelILj256ELj4ELj64ELN6hipcub17WarpLoadAlgorithmE0EdEvPT3_S3_.kd
    .uniform_work_group_size: 1
    .uses_dynamic_stack: false
    .vgpr_count:     18
    .vgpr_spill_count: 0
    .wavefront_size: 64
  - .args:
      - .address_space:  global
        .offset:         0
        .size:           8
        .value_kind:     global_buffer
      - .address_space:  global
        .offset:         8
        .size:           8
        .value_kind:     global_buffer
    .group_segment_fixed_size: 0
    .kernarg_segment_align: 8
    .kernarg_segment_size: 16
    .language:       OpenCL C
    .language_version:
      - 2
      - 0
    .max_flat_workgroup_size: 256
    .name:           _Z16warp_load_kernelILj256ELj4ELj64ELN6hipcub17WarpLoadAlgorithmE1EdEvPT3_S3_
    .private_segment_fixed_size: 0
    .sgpr_count:     11
    .sgpr_spill_count: 0
    .symbol:         _Z16warp_load_kernelILj256ELj4ELj64ELN6hipcub17WarpLoadAlgorithmE1EdEvPT3_S3_.kd
    .uniform_work_group_size: 1
    .uses_dynamic_stack: false
    .vgpr_count:     19
    .vgpr_spill_count: 0
    .wavefront_size: 64
  - .args:
      - .address_space:  global
        .offset:         0
        .size:           8
        .value_kind:     global_buffer
      - .address_space:  global
        .offset:         8
        .size:           8
        .value_kind:     global_buffer
    .group_segment_fixed_size: 0
    .kernarg_segment_align: 8
    .kernarg_segment_size: 16
    .language:       OpenCL C
    .language_version:
      - 2
      - 0
    .max_flat_workgroup_size: 256
    .name:           _Z16warp_load_kernelILj256ELj4ELj64ELN6hipcub17WarpLoadAlgorithmE2EdEvPT3_S3_
    .private_segment_fixed_size: 0
    .sgpr_count:     11
    .sgpr_spill_count: 0
    .symbol:         _Z16warp_load_kernelILj256ELj4ELj64ELN6hipcub17WarpLoadAlgorithmE2EdEvPT3_S3_.kd
    .uniform_work_group_size: 1
    .uses_dynamic_stack: false
    .vgpr_count:     18
    .vgpr_spill_count: 0
    .wavefront_size: 64
  - .args:
      - .address_space:  global
        .offset:         0
        .size:           8
        .value_kind:     global_buffer
      - .address_space:  global
        .offset:         8
        .size:           8
        .value_kind:     global_buffer
    .group_segment_fixed_size: 8192
    .kernarg_segment_align: 8
    .kernarg_segment_size: 16
    .language:       OpenCL C
    .language_version:
      - 2
      - 0
    .max_flat_workgroup_size: 256
    .name:           _Z16warp_load_kernelILj256ELj4ELj64ELN6hipcub17WarpLoadAlgorithmE3EdEvPT3_S3_
    .private_segment_fixed_size: 0
    .sgpr_count:     11
    .sgpr_spill_count: 0
    .symbol:         _Z16warp_load_kernelILj256ELj4ELj64ELN6hipcub17WarpLoadAlgorithmE3EdEvPT3_S3_.kd
    .uniform_work_group_size: 1
    .uses_dynamic_stack: false
    .vgpr_count:     24
    .vgpr_spill_count: 0
    .wavefront_size: 64
  - .args:
      - .address_space:  global
        .offset:         0
        .size:           8
        .value_kind:     global_buffer
      - .address_space:  global
        .offset:         8
        .size:           8
        .value_kind:     global_buffer
    .group_segment_fixed_size: 0
    .kernarg_segment_align: 8
    .kernarg_segment_size: 16
    .language:       OpenCL C
    .language_version:
      - 2
      - 0
    .max_flat_workgroup_size: 256
    .name:           _Z16warp_load_kernelILj256ELj8ELj64ELN6hipcub17WarpLoadAlgorithmE0EdEvPT3_S3_
    .private_segment_fixed_size: 0
    .sgpr_count:     11
    .sgpr_spill_count: 0
    .symbol:         _Z16warp_load_kernelILj256ELj8ELj64ELN6hipcub17WarpLoadAlgorithmE0EdEvPT3_S3_.kd
    .uniform_work_group_size: 1
    .uses_dynamic_stack: false
    .vgpr_count:     23
    .vgpr_spill_count: 0
    .wavefront_size: 64
  - .args:
      - .address_space:  global
        .offset:         0
        .size:           8
        .value_kind:     global_buffer
      - .address_space:  global
        .offset:         8
        .size:           8
        .value_kind:     global_buffer
    .group_segment_fixed_size: 0
    .kernarg_segment_align: 8
    .kernarg_segment_size: 16
    .language:       OpenCL C
    .language_version:
      - 2
      - 0
    .max_flat_workgroup_size: 256
    .name:           _Z16warp_load_kernelILj256ELj8ELj64ELN6hipcub17WarpLoadAlgorithmE1EdEvPT3_S3_
    .private_segment_fixed_size: 0
    .sgpr_count:     11
    .sgpr_spill_count: 0
    .symbol:         _Z16warp_load_kernelILj256ELj8ELj64ELN6hipcub17WarpLoadAlgorithmE1EdEvPT3_S3_.kd
    .uniform_work_group_size: 1
    .uses_dynamic_stack: false
    .vgpr_count:     25
    .vgpr_spill_count: 0
    .wavefront_size: 64
  - .args:
      - .address_space:  global
        .offset:         0
        .size:           8
        .value_kind:     global_buffer
      - .address_space:  global
        .offset:         8
        .size:           8
        .value_kind:     global_buffer
    .group_segment_fixed_size: 0
    .kernarg_segment_align: 8
    .kernarg_segment_size: 16
    .language:       OpenCL C
    .language_version:
      - 2
      - 0
    .max_flat_workgroup_size: 256
    .name:           _Z16warp_load_kernelILj256ELj8ELj64ELN6hipcub17WarpLoadAlgorithmE2EdEvPT3_S3_
    .private_segment_fixed_size: 0
    .sgpr_count:     11
    .sgpr_spill_count: 0
    .symbol:         _Z16warp_load_kernelILj256ELj8ELj64ELN6hipcub17WarpLoadAlgorithmE2EdEvPT3_S3_.kd
    .uniform_work_group_size: 1
    .uses_dynamic_stack: false
    .vgpr_count:     23
    .vgpr_spill_count: 0
    .wavefront_size: 64
  - .args:
      - .address_space:  global
        .offset:         0
        .size:           8
        .value_kind:     global_buffer
      - .address_space:  global
        .offset:         8
        .size:           8
        .value_kind:     global_buffer
    .group_segment_fixed_size: 16384
    .kernarg_segment_align: 8
    .kernarg_segment_size: 16
    .language:       OpenCL C
    .language_version:
      - 2
      - 0
    .max_flat_workgroup_size: 256
    .name:           _Z16warp_load_kernelILj256ELj8ELj64ELN6hipcub17WarpLoadAlgorithmE3EdEvPT3_S3_
    .private_segment_fixed_size: 0
    .sgpr_count:     11
    .sgpr_spill_count: 0
    .symbol:         _Z16warp_load_kernelILj256ELj8ELj64ELN6hipcub17WarpLoadAlgorithmE3EdEvPT3_S3_.kd
    .uniform_work_group_size: 1
    .uses_dynamic_stack: false
    .vgpr_count:     38
    .vgpr_spill_count: 0
    .wavefront_size: 64
  - .args:
      - .address_space:  global
        .offset:         0
        .size:           8
        .value_kind:     global_buffer
      - .address_space:  global
        .offset:         8
        .size:           8
        .value_kind:     global_buffer
    .group_segment_fixed_size: 0
    .kernarg_segment_align: 8
    .kernarg_segment_size: 16
    .language:       OpenCL C
    .language_version:
      - 2
      - 0
    .max_flat_workgroup_size: 256
    .name:           _Z16warp_load_kernelILj256ELj16ELj64ELN6hipcub17WarpLoadAlgorithmE0EdEvPT3_S3_
    .private_segment_fixed_size: 0
    .sgpr_count:     11
    .sgpr_spill_count: 0
    .symbol:         _Z16warp_load_kernelILj256ELj16ELj64ELN6hipcub17WarpLoadAlgorithmE0EdEvPT3_S3_.kd
    .uniform_work_group_size: 1
    .uses_dynamic_stack: false
    .vgpr_count:     39
    .vgpr_spill_count: 0
    .wavefront_size: 64
  - .args:
      - .address_space:  global
        .offset:         0
        .size:           8
        .value_kind:     global_buffer
      - .address_space:  global
        .offset:         8
        .size:           8
        .value_kind:     global_buffer
    .group_segment_fixed_size: 0
    .kernarg_segment_align: 8
    .kernarg_segment_size: 16
    .language:       OpenCL C
    .language_version:
      - 2
      - 0
    .max_flat_workgroup_size: 256
    .name:           _Z16warp_load_kernelILj256ELj16ELj64ELN6hipcub17WarpLoadAlgorithmE1EdEvPT3_S3_
    .private_segment_fixed_size: 0
    .sgpr_count:     11
    .sgpr_spill_count: 0
    .symbol:         _Z16warp_load_kernelILj256ELj16ELj64ELN6hipcub17WarpLoadAlgorithmE1EdEvPT3_S3_.kd
    .uniform_work_group_size: 1
    .uses_dynamic_stack: false
    .vgpr_count:     41
    .vgpr_spill_count: 0
    .wavefront_size: 64
  - .args:
      - .address_space:  global
        .offset:         0
        .size:           8
        .value_kind:     global_buffer
      - .address_space:  global
        .offset:         8
        .size:           8
        .value_kind:     global_buffer
    .group_segment_fixed_size: 0
    .kernarg_segment_align: 8
    .kernarg_segment_size: 16
    .language:       OpenCL C
    .language_version:
      - 2
      - 0
    .max_flat_workgroup_size: 256
    .name:           _Z16warp_load_kernelILj256ELj16ELj64ELN6hipcub17WarpLoadAlgorithmE2EdEvPT3_S3_
    .private_segment_fixed_size: 0
    .sgpr_count:     11
    .sgpr_spill_count: 0
    .symbol:         _Z16warp_load_kernelILj256ELj16ELj64ELN6hipcub17WarpLoadAlgorithmE2EdEvPT3_S3_.kd
    .uniform_work_group_size: 1
    .uses_dynamic_stack: false
    .vgpr_count:     39
    .vgpr_spill_count: 0
    .wavefront_size: 64
  - .args:
      - .address_space:  global
        .offset:         0
        .size:           8
        .value_kind:     global_buffer
      - .address_space:  global
        .offset:         8
        .size:           8
        .value_kind:     global_buffer
    .group_segment_fixed_size: 0
    .kernarg_segment_align: 8
    .kernarg_segment_size: 16
    .language:       OpenCL C
    .language_version:
      - 2
      - 0
    .max_flat_workgroup_size: 256
    .name:           _Z16warp_load_kernelILj256ELj32ELj64ELN6hipcub17WarpLoadAlgorithmE0EdEvPT3_S3_
    .private_segment_fixed_size: 0
    .sgpr_count:     11
    .sgpr_spill_count: 0
    .symbol:         _Z16warp_load_kernelILj256ELj32ELj64ELN6hipcub17WarpLoadAlgorithmE0EdEvPT3_S3_.kd
    .uniform_work_group_size: 1
    .uses_dynamic_stack: false
    .vgpr_count:     82
    .vgpr_spill_count: 0
    .wavefront_size: 64
  - .args:
      - .address_space:  global
        .offset:         0
        .size:           8
        .value_kind:     global_buffer
      - .address_space:  global
        .offset:         8
        .size:           8
        .value_kind:     global_buffer
    .group_segment_fixed_size: 0
    .kernarg_segment_align: 8
    .kernarg_segment_size: 16
    .language:       OpenCL C
    .language_version:
      - 2
      - 0
    .max_flat_workgroup_size: 256
    .name:           _Z16warp_load_kernelILj256ELj32ELj64ELN6hipcub17WarpLoadAlgorithmE1EdEvPT3_S3_
    .private_segment_fixed_size: 0
    .sgpr_count:     11
    .sgpr_spill_count: 0
    .symbol:         _Z16warp_load_kernelILj256ELj32ELj64ELN6hipcub17WarpLoadAlgorithmE1EdEvPT3_S3_.kd
    .uniform_work_group_size: 1
    .uses_dynamic_stack: false
    .vgpr_count:     76
    .vgpr_spill_count: 0
    .wavefront_size: 64
  - .args:
      - .address_space:  global
        .offset:         0
        .size:           8
        .value_kind:     global_buffer
      - .address_space:  global
        .offset:         8
        .size:           8
        .value_kind:     global_buffer
    .group_segment_fixed_size: 0
    .kernarg_segment_align: 8
    .kernarg_segment_size: 16
    .language:       OpenCL C
    .language_version:
      - 2
      - 0
    .max_flat_workgroup_size: 256
    .name:           _Z16warp_load_kernelILj256ELj32ELj64ELN6hipcub17WarpLoadAlgorithmE2EdEvPT3_S3_
    .private_segment_fixed_size: 0
    .sgpr_count:     11
    .sgpr_spill_count: 0
    .symbol:         _Z16warp_load_kernelILj256ELj32ELj64ELN6hipcub17WarpLoadAlgorithmE2EdEvPT3_S3_.kd
    .uniform_work_group_size: 1
    .uses_dynamic_stack: false
    .vgpr_count:     82
    .vgpr_spill_count: 0
    .wavefront_size: 64
  - .args:
      - .address_space:  global
        .offset:         0
        .size:           8
        .value_kind:     global_buffer
      - .address_space:  global
        .offset:         8
        .size:           8
        .value_kind:     global_buffer
    .group_segment_fixed_size: 0
    .kernarg_segment_align: 8
    .kernarg_segment_size: 16
    .language:       OpenCL C
    .language_version:
      - 2
      - 0
    .max_flat_workgroup_size: 256
    .name:           _Z16warp_load_kernelILj256ELj64ELj64ELN6hipcub17WarpLoadAlgorithmE0EdEvPT3_S3_
    .private_segment_fixed_size: 0
    .sgpr_count:     11
    .sgpr_spill_count: 0
    .symbol:         _Z16warp_load_kernelILj256ELj64ELj64ELN6hipcub17WarpLoadAlgorithmE0EdEvPT3_S3_.kd
    .uniform_work_group_size: 1
    .uses_dynamic_stack: false
    .vgpr_count:     139
    .vgpr_spill_count: 0
    .wavefront_size: 64
  - .args:
      - .address_space:  global
        .offset:         0
        .size:           8
        .value_kind:     global_buffer
      - .address_space:  global
        .offset:         8
        .size:           8
        .value_kind:     global_buffer
    .group_segment_fixed_size: 0
    .kernarg_segment_align: 8
    .kernarg_segment_size: 16
    .language:       OpenCL C
    .language_version:
      - 2
      - 0
    .max_flat_workgroup_size: 256
    .name:           _Z16warp_load_kernelILj256ELj64ELj64ELN6hipcub17WarpLoadAlgorithmE1EdEvPT3_S3_
    .private_segment_fixed_size: 0
    .sgpr_count:     11
    .sgpr_spill_count: 0
    .symbol:         _Z16warp_load_kernelILj256ELj64ELj64ELN6hipcub17WarpLoadAlgorithmE1EdEvPT3_S3_.kd
    .uniform_work_group_size: 1
    .uses_dynamic_stack: false
    .vgpr_count:     135
    .vgpr_spill_count: 0
    .wavefront_size: 64
  - .args:
      - .address_space:  global
        .offset:         0
        .size:           8
        .value_kind:     global_buffer
      - .address_space:  global
        .offset:         8
        .size:           8
        .value_kind:     global_buffer
    .group_segment_fixed_size: 0
    .kernarg_segment_align: 8
    .kernarg_segment_size: 16
    .language:       OpenCL C
    .language_version:
      - 2
      - 0
    .max_flat_workgroup_size: 256
    .name:           _Z16warp_load_kernelILj256ELj64ELj64ELN6hipcub17WarpLoadAlgorithmE2EdEvPT3_S3_
    .private_segment_fixed_size: 0
    .sgpr_count:     11
    .sgpr_spill_count: 0
    .symbol:         _Z16warp_load_kernelILj256ELj64ELj64ELN6hipcub17WarpLoadAlgorithmE2EdEvPT3_S3_.kd
    .uniform_work_group_size: 1
    .uses_dynamic_stack: false
    .vgpr_count:     139
    .vgpr_spill_count: 0
    .wavefront_size: 64
amdhsa.target:   amdgcn-amd-amdhsa--gfx906
amdhsa.version:
  - 1
  - 2
...

	.end_amdgpu_metadata
